;; amdgpu-corpus repo=ROCm/aiter kind=harvested arch=n/a opt=n/a

/root/src/amdgpu-assembly/repos/ROCm__aiter/hsa/gfx950/fmoe_2stages/fmoe_stage1_bf16_pertokenFp8_blockscale_g1u1_112x128_pf3.co:	file format elf64-amdgpu

Disassembly of section .text:

0000000000002a00 <_ZN5aiter56fmoe_stage1_bf16_pertokenFp8_blockscale_g1u1_112x128_pf3E>:
	s_and_b32 s1, s1, 0xffff                                   // 000000002A00: 8601FF01 0000FFFF
	s_load_dwordx2 s[8:9], s[0:1], 0x0                         // 000000002A08: C0060200 00000000
	s_load_dwordx2 s[20:21], s[0:1], 0x10                      // 000000002A10: C0060500 00000010
	s_load_dwordx2 s[24:25], s[0:1], 0x20                      // 000000002A18: C0060600 00000020
	s_load_dwordx2 s[48:49], s[0:1], 0x30                      // 000000002A20: C0060C00 00000030
	s_load_dwordx2 s[28:29], s[0:1], 0x40                      // 000000002A28: C0060700 00000040
	s_load_dwordx2 s[32:33], s[0:1], 0x50                      // 000000002A30: C0060800 00000050
	s_load_dwordx2 s[36:37], s[0:1], 0x60                      // 000000002A38: C0060900 00000060
	s_load_dwordx2 s[12:13], s[0:1], 0x70                      // 000000002A40: C0060300 00000070
	s_load_dwordx2 s[44:45], s[0:1], 0x80                      // 000000002A48: C0060B00 00000080
	s_mov_b32 s89, 0                                           // 000000002A50: BED90080
	s_load_dword s64, s[0:1], 0x90                             // 000000002A54: C0021000 00000090
	s_load_dword s65, s[0:1], 0xa0                             // 000000002A5C: C0021040 000000A0
	s_load_dword s66, s[0:1], 0xb0                             // 000000002A64: C0021080 000000B0
	s_load_dword s67, s[0:1], 0xc0                             // 000000002A6C: C00210C0 000000C0
	s_load_dword s68, s[0:1], 0xd0                             // 000000002A74: C0021100 000000D0
	s_load_dword s69, s[0:1], 0xe0                             // 000000002A7C: C0021140 000000E0
	s_load_dword s71, s[0:1], 0xf0                             // 000000002A84: C00211C0 000000F0
	s_load_dword s72, s[0:1], 0x100                            // 000000002A8C: C0021200 00000100
	s_load_dword s74, s[0:1], 0x110                            // 000000002A94: C0021280 00000110
	s_load_dword s76, s[0:1], 0x120                            // 000000002A9C: C0021300 00000120
	s_load_dword s56, s[0:1], 0x130                            // 000000002AA4: C0020E00 00000130
	s_load_dword s88, s[0:1], 0x140                            // 000000002AAC: C0021600 00000140
	s_load_dword s89, s[0:1], 0x150                            // 000000002AB4: C0021640 00000150
	v_lshrrev_b32_e32 v1, 10, v0                               // 000000002ABC: 2002008A
	v_lshrrev_b32_e32 v2, 10, v1                               // 000000002AC0: 2004028A
	v_and_b32_e32 v2, 0x3ff, v2                                // 000000002AC4: 260404FF 000003FF
	v_and_b32_e32 v1, 0x3ff, v1                                // 000000002ACC: 260202FF 000003FF
	v_and_b32_e32 v0, 0x3ff, v0                                // 000000002AD4: 260000FF 000003FF
	v_lshrrev_b32_e32 v3, 6, v0                                // 000000002ADC: 20060086
	v_and_b32_e32 v0, 63, v0                                   // 000000002AE0: 260000BF
	s_mov_b32 s2, s2                                           // 000000002AE4: BE820002
	s_mov_b32 s3, s3                                           // 000000002AE8: BE830003
	s_mov_b32 s4, s4                                           // 000000002AEC: BE840004
	v_readfirstlane_b32 s7, v3                                 // 000000002AF0: 7E0E0503
	s_waitcnt lgkmcnt(0)                                       // 000000002AF4: BF8CC07F
	s_and_b32 s49, s49, 0xffff                                 // 000000002AF8: 8631FF31 0000FFFF
	s_load_dword s48, s[48:49], 0x0                            // 000000002B00: C0020C18 00000000
	s_and_b32 s45, s45, 0xffff                                 // 000000002B08: 862DFF2D 0000FFFF
	s_and_b32 s9, s9, 0xffff                                   // 000000002B10: 8609FF09 0000FFFF
	s_mul_i32 s60, s66, s68                                    // 000000002B18: 923C4442
	s_mul_i32 s61, s66, 4                                      // 000000002B1C: 923D8442
	s_mov_b32 s22, s60                                         // 000000002B20: BE96003C
	s_mov_b32 s26, -16                                         // 000000002B24: BE9A00D0
	s_mov_b32 s30, s61                                         // 000000002B28: BE9E003D
	s_mov_b32 s14, 0x1c0                                       // 000000002B2C: BE8E00FF 000001C0
	s_mov_b32 s38, -16                                         // 000000002B34: BEA600D0
	s_mov_b32 s10, -16                                         // 000000002B38: BE8A00D0
	s_lshr_b32 s60, s64, 7                                     // 000000002B3C: 8F3C8740
	s_mul_i32 s61, s60, 4                                      // 000000002B40: 923D843C
	s_lshr_b32 s60, s65, 7                                     // 000000002B44: 8F3C8741
	s_add_u32 s60, s60, 1                                      // 000000002B48: 803C813C
	s_mul_i32 s60, s60, s61                                    // 000000002B4C: 923C3D3C
	s_mov_b32 s34, s60                                         // 000000002B50: BEA2003C
	s_mov_b32 s23, 0x20000                                     // 000000002B54: BE9700FF 00020000
	s_mov_b32 s27, 0x20000                                     // 000000002B5C: BE9B00FF 00020000
	s_mov_b32 s31, 0x20000                                     // 000000002B64: BE9F00FF 00020000
	s_mov_b32 s35, 0x20000                                     // 000000002B6C: BEA300FF 00020000
	s_mov_b32 s15, 0x20000                                     // 000000002B74: BE8F00FF 00020000
	s_mov_b32 s39, 0x20000                                     // 000000002B7C: BEA700FF 00020000
	s_mov_b32 s11, 0x20000                                     // 000000002B84: BE8B00FF 00020000
	s_and_b32 s21, s21, 0xffff                                 // 000000002B8C: 8615FF15 0000FFFF
	s_and_b32 s25, s25, 0xffff                                 // 000000002B94: 8619FF19 0000FFFF
	s_and_b32 s29, s29, 0xffff                                 // 000000002B9C: 861DFF1D 0000FFFF
	s_and_b32 s33, s33, 0xffff                                 // 000000002BA4: 8621FF21 0000FFFF
	s_and_b32 s13, s13, 0xffff                                 // 000000002BAC: 860DFF0D 0000FFFF
	s_and_b32 s37, s37, 0xffff                                 // 000000002BB4: 8625FF25 0000FFFF
	s_or_b32 s21, s21, 0x40000                                 // 000000002BBC: 8715FF15 00040000
	s_or_b32 s25, s25, 0x40000                                 // 000000002BC4: 8719FF19 00040000
	s_or_b32 s29, s29, 0x40000                                 // 000000002BCC: 871DFF1D 00040000
	s_or_b32 s33, s33, 0x40000                                 // 000000002BD4: 8721FF21 00040000
	s_or_b32 s13, s13, 0x40000                                 // 000000002BDC: 870DFF0D 00040000
	s_or_b32 s37, s37, 0x40000                                 // 000000002BE4: 8725FF25 00040000
	v_accvgpr_write_b32 a159, 0                                // 000000002BEC: D3D9409F 18000080
	v_mov_b32_e32 v187, 0                                      // 000000002BF4: 7F760280
	s_waitcnt lgkmcnt(0)                                       // 000000002BF8: BF8CC07F
	s_mul_i32 s60, s3, 0x70                                    // 000000002BFC: 923CFF03 00000070
	s_cmp_lt_i32 s60, s48                                      // 000000002C04: BF04303C
	s_cbranch_scc0 label_4190                                  // 000000002C08: BF84410A
	s_mov_b32 s80, 0                                           // 000000002C0C: BED00080
	s_lshr_b32 s81, s64, s88                                   // 000000002C10: 8F515840
	s_mul_i32 s60, s3, 4                                       // 000000002C14: 923C8403
	s_add_u32 s44, s60, s44                                    // 000000002C18: 802C2C3C
	s_addc_u32 s45, 0, s45                                     // 000000002C1C: 822D2D80
	s_load_dword s5, s[44:45], 0x0                             // 000000002C20: C0020156 00000000
	s_mul_i32 s60, s3, 0x70                                    // 000000002C28: 923CFF03 00000070
	s_mul_i32 s60, 4, s60                                      // 000000002C30: 923C3C84
	s_add_u32 s12, s60, s12                                    // 000000002C34: 800C0C3C
	s_addc_u32 s13, 0, s13                                     // 000000002C38: 820D0D80
	v_and_b32_e32 v4, 15, v0                                   // 000000002C3C: 2608008F
	v_lshlrev_b32_e32 v4, 2, v4                                // 000000002C40: 24080882
	buffer_load_dword v30, v4, s[12:15], 0 offen               // 000000002C44: E0501000 80031E04
	v_add_u32_e32 v4, 64, v4                                   // 000000002C4C: 680808C0
	buffer_load_dword v31, v4, s[12:15], 0 offen               // 000000002C50: E0501000 80031F04
	v_add_u32_e32 v4, 64, v4                                   // 000000002C58: 680808C0
	buffer_load_dword v32, v4, s[12:15], 0 offen               // 000000002C5C: E0501000 80032004
	v_add_u32_e32 v4, 64, v4                                   // 000000002C64: 680808C0
	buffer_load_dword v33, v4, s[12:15], 0 offen               // 000000002C68: E0501000 80032104
	v_add_u32_e32 v4, 64, v4                                   // 000000002C70: 680808C0
	buffer_load_dword v34, v4, s[12:15], 0 offen               // 000000002C74: E0501000 80032204
	v_add_u32_e32 v4, 64, v4                                   // 000000002C7C: 680808C0
	buffer_load_dword v35, v4, s[12:15], 0 offen               // 000000002C80: E0501000 80032304
	v_add_u32_e32 v4, 64, v4                                   // 000000002C88: 680808C0
	buffer_load_dword v36, v4, s[12:15], 0 offen               // 000000002C8C: E0501000 80032404
	v_add_u32_e32 v4, 64, v4                                   // 000000002C94: 680808C0
	s_mul_i32 s60, 4, s7                                       // 000000002C98: 923C0784
	v_lshlrev_b32_e32 v4, 4, v0                                // 000000002C9C: 24080084
	v_add_u32_e32 v4, s60, v4                                  // 000000002CA0: 6808083C
	buffer_load_dword v3, v4, s[12:15], 0 offen                // 000000002CA4: E0501000 80030304
	v_mov_b32_e32 v76, 0                                       // 000000002CAC: 7E980280
	v_mov_b32_e32 v132, 0                                      // 000000002CB0: 7F080280
	v_mov_b32_e32 v77, 0                                       // 000000002CB4: 7E9A0280
	v_mov_b32_e32 v133, 0                                      // 000000002CB8: 7F0A0280
	v_mov_b32_e32 v78, 0                                       // 000000002CBC: 7E9C0280
	v_mov_b32_e32 v134, 0                                      // 000000002CC0: 7F0C0280
	v_mov_b32_e32 v79, 0                                       // 000000002CC4: 7E9E0280
	v_mov_b32_e32 v135, 0                                      // 000000002CC8: 7F0E0280
	v_mov_b32_e32 v80, 0                                       // 000000002CCC: 7EA00280
	v_mov_b32_e32 v136, 0                                      // 000000002CD0: 7F100280
	v_mov_b32_e32 v81, 0                                       // 000000002CD4: 7EA20280
	v_mov_b32_e32 v137, 0                                      // 000000002CD8: 7F120280
	v_mov_b32_e32 v82, 0                                       // 000000002CDC: 7EA40280
	v_mov_b32_e32 v138, 0                                      // 000000002CE0: 7F140280
	v_mov_b32_e32 v83, 0                                       // 000000002CE4: 7EA60280
	v_mov_b32_e32 v139, 0                                      // 000000002CE8: 7F160280
	v_mov_b32_e32 v84, 0                                       // 000000002CEC: 7EA80280
	v_mov_b32_e32 v140, 0                                      // 000000002CF0: 7F180280
	v_mov_b32_e32 v85, 0                                       // 000000002CF4: 7EAA0280
	v_mov_b32_e32 v141, 0                                      // 000000002CF8: 7F1A0280
	v_mov_b32_e32 v86, 0                                       // 000000002CFC: 7EAC0280
	v_mov_b32_e32 v142, 0                                      // 000000002D00: 7F1C0280
	v_mov_b32_e32 v87, 0                                       // 000000002D04: 7EAE0280
	v_mov_b32_e32 v143, 0                                      // 000000002D08: 7F1E0280
	v_mov_b32_e32 v88, 0                                       // 000000002D0C: 7EB00280
	v_mov_b32_e32 v144, 0                                      // 000000002D10: 7F200280
	v_mov_b32_e32 v89, 0                                       // 000000002D14: 7EB20280
	v_mov_b32_e32 v145, 0                                      // 000000002D18: 7F220280
	v_mov_b32_e32 v90, 0                                       // 000000002D1C: 7EB40280
	v_mov_b32_e32 v146, 0                                      // 000000002D20: 7F240280
	v_mov_b32_e32 v91, 0                                       // 000000002D24: 7EB60280
	v_mov_b32_e32 v147, 0                                      // 000000002D28: 7F260280
	v_mov_b32_e32 v92, 0                                       // 000000002D2C: 7EB80280
	v_mov_b32_e32 v148, 0                                      // 000000002D30: 7F280280
	v_mov_b32_e32 v93, 0                                       // 000000002D34: 7EBA0280
	v_mov_b32_e32 v149, 0                                      // 000000002D38: 7F2A0280
	v_mov_b32_e32 v94, 0                                       // 000000002D3C: 7EBC0280
	v_mov_b32_e32 v150, 0                                      // 000000002D40: 7F2C0280
	v_mov_b32_e32 v95, 0                                       // 000000002D44: 7EBE0280
	v_mov_b32_e32 v151, 0                                      // 000000002D48: 7F2E0280
	v_mov_b32_e32 v96, 0                                       // 000000002D4C: 7EC00280
	v_mov_b32_e32 v152, 0                                      // 000000002D50: 7F300280
	v_mov_b32_e32 v97, 0                                       // 000000002D54: 7EC20280
	v_mov_b32_e32 v153, 0                                      // 000000002D58: 7F320280
	v_mov_b32_e32 v98, 0                                       // 000000002D5C: 7EC40280
	v_mov_b32_e32 v154, 0                                      // 000000002D60: 7F340280
	v_mov_b32_e32 v99, 0                                       // 000000002D64: 7EC60280
	v_mov_b32_e32 v155, 0                                      // 000000002D68: 7F360280
	v_mov_b32_e32 v100, 0                                      // 000000002D6C: 7EC80280
	v_mov_b32_e32 v156, 0                                      // 000000002D70: 7F380280
	v_mov_b32_e32 v101, 0                                      // 000000002D74: 7ECA0280
	v_mov_b32_e32 v157, 0                                      // 000000002D78: 7F3A0280
	v_mov_b32_e32 v102, 0                                      // 000000002D7C: 7ECC0280
	v_mov_b32_e32 v158, 0                                      // 000000002D80: 7F3C0280
	v_mov_b32_e32 v103, 0                                      // 000000002D84: 7ECE0280
	v_mov_b32_e32 v159, 0                                      // 000000002D88: 7F3E0280
	v_mov_b32_e32 v104, 0                                      // 000000002D8C: 7ED00280
	v_mov_b32_e32 v160, 0                                      // 000000002D90: 7F400280
	v_mov_b32_e32 v105, 0                                      // 000000002D94: 7ED20280
	v_mov_b32_e32 v161, 0                                      // 000000002D98: 7F420280
	v_mov_b32_e32 v106, 0                                      // 000000002D9C: 7ED40280
	v_mov_b32_e32 v162, 0                                      // 000000002DA0: 7F440280
	v_mov_b32_e32 v107, 0                                      // 000000002DA4: 7ED60280
	v_mov_b32_e32 v163, 0                                      // 000000002DA8: 7F460280
	v_mov_b32_e32 v108, 0                                      // 000000002DAC: 7ED80280
	v_mov_b32_e32 v164, 0                                      // 000000002DB0: 7F480280
	v_mov_b32_e32 v109, 0                                      // 000000002DB4: 7EDA0280
	v_mov_b32_e32 v165, 0                                      // 000000002DB8: 7F4A0280
	v_mov_b32_e32 v110, 0                                      // 000000002DBC: 7EDC0280
	v_mov_b32_e32 v166, 0                                      // 000000002DC0: 7F4C0280
	v_mov_b32_e32 v111, 0                                      // 000000002DC4: 7EDE0280
	v_mov_b32_e32 v167, 0                                      // 000000002DC8: 7F4E0280
	v_mov_b32_e32 v112, 0                                      // 000000002DCC: 7EE00280
	v_mov_b32_e32 v168, 0                                      // 000000002DD0: 7F500280
	v_mov_b32_e32 v113, 0                                      // 000000002DD4: 7EE20280
	v_mov_b32_e32 v169, 0                                      // 000000002DD8: 7F520280
	v_mov_b32_e32 v114, 0                                      // 000000002DDC: 7EE40280
	v_mov_b32_e32 v170, 0                                      // 000000002DE0: 7F540280
	v_mov_b32_e32 v115, 0                                      // 000000002DE4: 7EE60280
	v_mov_b32_e32 v171, 0                                      // 000000002DE8: 7F560280
	v_mov_b32_e32 v116, 0                                      // 000000002DEC: 7EE80280
	v_mov_b32_e32 v172, 0                                      // 000000002DF0: 7F580280
	v_mov_b32_e32 v117, 0                                      // 000000002DF4: 7EEA0280
	v_mov_b32_e32 v173, 0                                      // 000000002DF8: 7F5A0280
	v_mov_b32_e32 v118, 0                                      // 000000002DFC: 7EEC0280
	v_mov_b32_e32 v174, 0                                      // 000000002E00: 7F5C0280
	v_mov_b32_e32 v119, 0                                      // 000000002E04: 7EEE0280
	v_mov_b32_e32 v175, 0                                      // 000000002E08: 7F5E0280
	v_mov_b32_e32 v120, 0                                      // 000000002E0C: 7EF00280
	v_mov_b32_e32 v176, 0                                      // 000000002E10: 7F600280
	v_mov_b32_e32 v121, 0                                      // 000000002E14: 7EF20280
	v_mov_b32_e32 v177, 0                                      // 000000002E18: 7F620280
	v_mov_b32_e32 v122, 0                                      // 000000002E1C: 7EF40280
	v_mov_b32_e32 v178, 0                                      // 000000002E20: 7F640280
	v_mov_b32_e32 v123, 0                                      // 000000002E24: 7EF60280
	v_mov_b32_e32 v179, 0                                      // 000000002E28: 7F660280
	v_mov_b32_e32 v124, 0                                      // 000000002E2C: 7EF80280
	v_mov_b32_e32 v180, 0                                      // 000000002E30: 7F680280
	v_mov_b32_e32 v125, 0                                      // 000000002E34: 7EFA0280
	v_mov_b32_e32 v181, 0                                      // 000000002E38: 7F6A0280
	v_mov_b32_e32 v126, 0                                      // 000000002E3C: 7EFC0280
	v_mov_b32_e32 v182, 0                                      // 000000002E40: 7F6C0280
	v_mov_b32_e32 v127, 0                                      // 000000002E44: 7EFE0280
	v_mov_b32_e32 v183, 0                                      // 000000002E48: 7F6E0280
	v_mov_b32_e32 v128, 0                                      // 000000002E4C: 7F000280
	v_mov_b32_e32 v184, 0                                      // 000000002E50: 7F700280
	v_mov_b32_e32 v129, 0                                      // 000000002E54: 7F020280
	v_mov_b32_e32 v185, 0                                      // 000000002E58: 7F720280
	v_mov_b32_e32 v130, 0                                      // 000000002E5C: 7F040280
	v_mov_b32_e32 v186, 0                                      // 000000002E60: 7F740280
	v_mov_b32_e32 v131, 0                                      // 000000002E64: 7F060280
	v_mov_b32_e32 v187, 0                                      // 000000002E68: 7F760280
	s_mul_i32 s60, s2, 0x80                                    // 000000002E6C: 923CFF02 00000080
	s_cmp_eq_u32 s88, 0                                        // 000000002E74: BF068058
	s_cselect_b32 s61, 1, 4                                    // 000000002E78: 853D8481
	s_mul_i32 s60, s60, s61                                    // 000000002E7C: 923C3D3C
	s_mov_b32 s90, s8                                          // 000000002E80: BEDA0008
	s_mov_b32 s91, s9                                          // 000000002E84: BEDB0009
	s_add_u32 s8, s60, s8                                      // 000000002E88: 8008083C
	s_addc_u32 s9, 0, s9                                       // 000000002E8C: 82090980
	v_lshrrev_b32_e32 v4, 4, v0                                // 000000002E90: 20080084
	v_mul_lo_u32 v20, 34, v4                                   // 000000002E94: D2850014 000208A2
	v_and_b32_e32 v4, 15, v0                                   // 000000002E9C: 2608008F
	v_mul_lo_u32 v5, 2, v4                                     // 000000002EA0: D2850005 00020882
	v_add_u32_e32 v20, v5, v20                                 // 000000002EA8: 68282905
	s_mul_i32 s60, s7, 0x88                                    // 000000002EAC: 923CFF07 00000088
	v_add_u32_e32 v20, s60, v20                                // 000000002EB4: 6828283C
	v_lshlrev_b32_e32 v20, 2, v20                              // 000000002EB8: 24282882
	v_and_b32_e32 v4, 31, v0                                   // 000000002EBC: 2608009F
	v_lshrrev_b32_e32 v4, 1, v4                                // 000000002EC0: 20080881
	v_mul_lo_u32 v21, 34, v4                                   // 000000002EC4: D2850015 000208A2
	v_lshrrev_b32_e32 v4, 5, v0                                // 000000002ECC: 20080085
	v_mul_lo_u32 v4, 8, v4                                     // 000000002ED0: D2850004 00020888
	v_add_u32_e32 v21, v21, v4                                 // 000000002ED8: 682A0915
	v_and_b32_e32 v5, 1, v0                                    // 000000002EDC: 260A0081
	v_add_u32_e32 v21, v5, v21                                 // 000000002EE0: 682A2B05
	s_mul_i32 s60, s7, 2                                       // 000000002EE4: 923C8207
	v_add_u32_e32 v21, s60, v21                                // 000000002EE8: 682A2A3C
	v_lshlrev_b32_e32 v21, 2, v21                              // 000000002EEC: 242A2A82
	s_mul_i32 s60, s7, 0xe20                                   // 000000002EF0: 923CFF07 00000E20
	s_add_u32 s48, 0, s60                                      // 000000002EF8: 80303C80
	s_add_u32 s49, 0x3880, s48                                 // 000000002EFC: 803130FF 00003880
	s_add_u32 s50, 0x3880, s49                                 // 000000002F04: 803231FF 00003880
	v_lshrrev_b32_e32 v4, 4, v0                                // 000000002F0C: 20080084
	v_lshlrev_b32_e32 v5, 2, v4                                // 000000002F10: 240A0882
	v_and_b32_e32 v4, 15, v0                                   // 000000002F14: 2608008F
	v_lshrrev_b32_e32 v6, 2, v4                                // 000000002F18: 200C0882
	v_lshlrev_b32_e32 v6, 5, v6                                // 000000002F1C: 240C0C85
	v_add_u32_e32 v5, v6, v5                                   // 000000002F20: 680A0B06
	v_and_b32_e32 v4, 3, v0                                    // 000000002F24: 26080083
	v_mul_u32_u24_e32 v6, 0x388, v4                            // 000000002F28: 100C08FF 00000388
	v_add_u32_e32 v5, v6, v5                                   // 000000002F30: 680A0B06
	v_lshlrev_b32_e32 v2, 2, v5                                // 000000002F34: 24040A82
	s_waitcnt lgkmcnt(0)                                       // 000000002F38: BF8CC07F
	s_mul_i32 s60, s2, 0x80                                    // 000000002F3C: 923CFF02 00000080
	s_mul_i32 s60, s60, s69                                    // 000000002F44: 923C453C
	s_mul_i32 s61, s5, s72                                     // 000000002F48: 923D4805
	s_add_u32 s60, s61, s60                                    // 000000002F4C: 803C3C3D
	s_add_u32 s24, s60, s24                                    // 000000002F50: 8018183C
	s_addc_u32 s25, 0, s25                                     // 000000002F54: 82191980
	s_lshr_b32 s60, s64, s88                                   // 000000002F58: 8F3C5840
	s_mul_i32 s60, s4, s60                                     // 000000002F5C: 923C3C04
	s_lshr_b32 s60, s60, 7                                     // 000000002F60: 8F3C873C
	s_mul_i32 s60, s60, 0x800                                  // 000000002F64: 923CFF3C 00000800
	s_add_u32 s24, s60, s24                                    // 000000002F6C: 8018183C
	s_addc_u32 s25, 0, s25                                     // 000000002F70: 82191980
	s_lshr_b32 s60, s69, s88                                   // 000000002F74: 8F3C5845
	s_mul_i32 s60, s4, s60                                     // 000000002F78: 923C3C04
	s_add_u32 s20, s60, s20                                    // 000000002F7C: 8014143C
	s_addc_u32 s21, 0, s21                                     // 000000002F80: 82151580
	s_mul_i32 s60, s7, 16                                      // 000000002F84: 923C9007
	s_mul_i32 s60, s60, s69                                    // 000000002F88: 923C453C
	v_lshlrev_b32_e32 v72, 4, v0                               // 000000002F8C: 24900084
	v_add_u32_e32 v72, s60, v72                                // 000000002F90: 6890903C
	s_mul_i32 s60, 64, s69                                     // 000000002F94: 923C45C0
	v_add_u32_e32 v73, s60, v72                                // 000000002F98: 6892903C
	s_mov_b32 s84, s24                                         // 000000002F9C: BED40018
	s_mov_b32 s85, s25                                         // 000000002FA0: BED50019
	s_mov_b32 s86, s26                                         // 000000002FA4: BED6001A
	s_mov_b32 s87, s27                                         // 000000002FA8: BED7001B
	s_mul_i32 s60, s69, s65                                    // 000000002FAC: 923C4145
	s_add_u32 s84, s60, s84                                    // 000000002FB0: 8054543C
	s_addc_u32 s85, 0, s85                                     // 000000002FB4: 82555580
	s_lshr_b32 s60, s64, 7                                     // 000000002FB8: 8F3C8740
	s_mul_i32 s61, s60, 4                                      // 000000002FBC: 923D843C
	v_and_b32_e32 v22, 15, v0                                  // 000000002FC0: 262C008F
	v_mul_lo_u32 v22, v22, s61                                 // 000000002FC4: D2850016 00007B16
	s_lshr_b32 s60, s65, 7                                     // 000000002FCC: 8F3C8741
	s_mul_i32 s60, s60, s61                                    // 000000002FD0: 923C3D3C
	v_add_u32_e64 v23, v22, s60                                // 000000002FD4: D1340017 00007916
	s_mul_i32 s60, s2, 1                                       // 000000002FDC: 923C8102
	s_mul_i32 s60, s60, s61                                    // 000000002FE0: 923C3D3C
	s_mul_i32 s61, s5, s74                                     // 000000002FE4: 923D4A05
	s_add_u32 s61, s61, s60                                    // 000000002FE8: 803D3C3D
	s_add_u32 s32, s61, s32                                    // 000000002FEC: 8020203D
	s_addc_u32 s33, 0, s33                                     // 000000002FF0: 82212180
	s_lshr_b32 s60, s64, 7                                     // 000000002FF4: 8F3C8740
	s_lshr_b32 s60, s60, s88                                   // 000000002FF8: 8F3C583C
	s_mul_i32 s60, s4, s60                                     // 000000002FFC: 923C3C04
	s_mul_i32 s61, s60, 4                                      // 000000003000: 923D843C
	s_add_u32 s32, s61, s32                                    // 000000003004: 8020203D
	s_addc_u32 s33, 0, s33                                     // 000000003008: 82212180
	s_lshl_b32 s62, s66, 2                                     // 00000000300C: 8E3E8242
	s_mul_i32 s62, s60, s62                                    // 000000003010: 923E3E3C
	s_add_u32 s28, s62, s28                                    // 000000003014: 801C1C3E
	s_addc_u32 s29, 0, s29                                     // 000000003018: 821D1D80
	s_mov_b32 s4, 4                                            // 00000000301C: BE840084
	s_mov_b32 s57, 0x80                                        // 000000003020: BEB900FF 00000080
	s_mov_b32 s58, 0x800                                       // 000000003028: BEBA00FF 00000800
	s_mov_b32 s83, s58                                         // 000000003030: BED3003A
	s_mov_b32 s52, 0x7060302                                   // 000000003034: BEB400FF 07060302
	s_mov_b32 s53, 0x400                                       // 00000000303C: BEB500FF 00000400
	s_mov_b32 s54, 0x40100                                     // 000000003044: BEB600FF 00040100
	s_mov_b32 s55, 0x4020100                                   // 00000000304C: BEB700FF 04020100
	s_mov_b32 s6, 0x3fb8aa3b                                   // 000000003054: BE8600FF 3FB8AA3B
	s_mov_b32 s78, 0xbd92220c                                  // 00000000305C: BECE00FF BD92220C
	s_mov_b32 s79, 0xbd92220c                                  // 000000003064: BECF00FF BD92220C
	s_mov_b32 m0, s48                                          // 00000000306C: BEFC0030
	v_mov_b32_e32 v1, 0xbfcc4231                               // 000000003070: 7E0202FF BFCC4231
	v_mov_b32_e32 v17, 0xffff0000                              // 000000003078: 7E2202FF FFFF0000
	v_mov_b32_e32 v18, 0x7fff0000                              // 000000003080: 7E2402FF 7FFF0000
	v_mov_b32_e32 v19, 0x7fff                                  // 000000003088: 7E2602FF 00007FFF
	s_waitcnt vmcnt(0) expcnt(0) lgkmcnt(0)                    // 000000003090: BF8C0000
	v_lshrrev_b32_e32 v4, 5, v0                                // 000000003094: 20080085
	v_xor_b32_e32 v5, 1, v4                                    // 000000003098: 2A0A0881
	v_readlane_b32 s82, v3, 0                                  // 00000000309C: D2890052 00010103
	s_and_b32 s82, s82, 0xffffff                               // 0000000030A4: 8652FF52 00FFFFFF
	v_mul_lo_u32 v6, v5, s82                                   // 0000000030AC: D2850006 0000A505
	v_readlane_b32 s82, v3, 1                                  // 0000000030B4: D2890052 00010303
	s_and_b32 s82, s82, 0xffffff                               // 0000000030BC: 8652FF52 00FFFFFF
	v_mul_lo_u32 v7, v4, s82                                   // 0000000030C4: D2850007 0000A504
	v_add_u32_e32 v58, v6, v7                                  // 0000000030CC: 68740F06
	v_mul_lo_u32 v58, v58, s68                                 // 0000000030D0: D285003A 0000893A
	v_readlane_b32 s82, v3, 2                                  // 0000000030D8: D2890052 00010503
	s_and_b32 s82, s82, 0xffffff                               // 0000000030E0: 8652FF52 00FFFFFF
	v_mul_lo_u32 v6, v5, s82                                   // 0000000030E8: D2850006 0000A505
	v_readlane_b32 s82, v3, 3                                  // 0000000030F0: D2890052 00010703
	s_and_b32 s82, s82, 0xffffff                               // 0000000030F8: 8652FF52 00FFFFFF
	v_mul_lo_u32 v7, v4, s82                                   // 000000003100: D2850007 0000A504
	v_add_u32_e32 v59, v6, v7                                  // 000000003108: 68760F06
	v_mul_lo_u32 v59, v59, s68                                 // 00000000310C: D285003B 0000893B
	v_readlane_b32 s82, v3, 4                                  // 000000003114: D2890052 00010903
	s_and_b32 s82, s82, 0xffffff                               // 00000000311C: 8652FF52 00FFFFFF
	v_mul_lo_u32 v6, v5, s82                                   // 000000003124: D2850006 0000A505
	v_readlane_b32 s82, v3, 5                                  // 00000000312C: D2890052 00010B03
	s_and_b32 s82, s82, 0xffffff                               // 000000003134: 8652FF52 00FFFFFF
	v_mul_lo_u32 v7, v4, s82                                   // 00000000313C: D2850007 0000A504
	v_add_u32_e32 v60, v6, v7                                  // 000000003144: 68780F06
	v_mul_lo_u32 v60, v60, s68                                 // 000000003148: D285003C 0000893C
	v_readlane_b32 s82, v3, 6                                  // 000000003150: D2890052 00010D03
	s_and_b32 s82, s82, 0xffffff                               // 000000003158: 8652FF52 00FFFFFF
	v_mul_lo_u32 v6, v5, s82                                   // 000000003160: D2850006 0000A505
	v_readlane_b32 s82, v3, 7                                  // 000000003168: D2890052 00010F03
	s_and_b32 s82, s82, 0xffffff                               // 000000003170: 8652FF52 00FFFFFF
	v_mul_lo_u32 v7, v4, s82                                   // 000000003178: D2850007 0000A504
	v_add_u32_e32 v61, v6, v7                                  // 000000003180: 687A0F06
	v_mul_lo_u32 v61, v61, s68                                 // 000000003184: D285003D 0000893D
	v_readlane_b32 s82, v3, 8                                  // 00000000318C: D2890052 00011103
	s_and_b32 s82, s82, 0xffffff                               // 000000003194: 8652FF52 00FFFFFF
	v_mul_lo_u32 v6, v5, s82                                   // 00000000319C: D2850006 0000A505
	v_readlane_b32 s82, v3, 9                                  // 0000000031A4: D2890052 00011303
	s_and_b32 s82, s82, 0xffffff                               // 0000000031AC: 8652FF52 00FFFFFF
	v_mul_lo_u32 v7, v4, s82                                   // 0000000031B4: D2850007 0000A504
	v_add_u32_e32 v62, v6, v7                                  // 0000000031BC: 687C0F06
	v_mul_lo_u32 v62, v62, s68                                 // 0000000031C0: D285003E 0000893E
	v_readlane_b32 s82, v3, 10                                 // 0000000031C8: D2890052 00011503
	s_and_b32 s82, s82, 0xffffff                               // 0000000031D0: 8652FF52 00FFFFFF
	v_mul_lo_u32 v6, v5, s82                                   // 0000000031D8: D2850006 0000A505
	v_readlane_b32 s82, v3, 11                                 // 0000000031E0: D2890052 00011703
	s_and_b32 s82, s82, 0xffffff                               // 0000000031E8: 8652FF52 00FFFFFF
	v_mul_lo_u32 v7, v4, s82                                   // 0000000031F0: D2850007 0000A504
	v_add_u32_e32 v63, v6, v7                                  // 0000000031F8: 687E0F06
	v_mul_lo_u32 v63, v63, s68                                 // 0000000031FC: D285003F 0000893F
	v_readlane_b32 s82, v3, 12                                 // 000000003204: D2890052 00011903
	s_and_b32 s82, s82, 0xffffff                               // 00000000320C: 8652FF52 00FFFFFF
	v_mul_lo_u32 v6, v5, s82                                   // 000000003214: D2850006 0000A505
	v_readlane_b32 s82, v3, 13                                 // 00000000321C: D2890052 00011B03
	s_and_b32 s82, s82, 0xffffff                               // 000000003224: 8652FF52 00FFFFFF
	v_mul_lo_u32 v7, v4, s82                                   // 00000000322C: D2850007 0000A504
	v_add_u32_e32 v64, v6, v7                                  // 000000003234: 68800F06
	v_mul_lo_u32 v64, v64, s68                                 // 000000003238: D2850040 00008940
	v_readlane_b32 s82, v3, 14                                 // 000000003240: D2890052 00011D03
	s_and_b32 s82, s82, 0xffffff                               // 000000003248: 8652FF52 00FFFFFF
	v_mul_lo_u32 v6, v5, s82                                   // 000000003250: D2850006 0000A505
	v_readlane_b32 s82, v3, 15                                 // 000000003258: D2890052 00011F03
	s_and_b32 s82, s82, 0xffffff                               // 000000003260: 8652FF52 00FFFFFF
	v_mul_lo_u32 v7, v4, s82                                   // 000000003268: D2850007 0000A504
	v_add_u32_e32 v65, v6, v7                                  // 000000003270: 68820F06
	v_mul_lo_u32 v65, v65, s68                                 // 000000003274: D2850041 00008941
	v_readlane_b32 s82, v3, 16                                 // 00000000327C: D2890052 00012103
	s_and_b32 s82, s82, 0xffffff                               // 000000003284: 8652FF52 00FFFFFF
	v_mul_lo_u32 v6, v5, s82                                   // 00000000328C: D2850006 0000A505
	v_readlane_b32 s82, v3, 17                                 // 000000003294: D2890052 00012303
	s_and_b32 s82, s82, 0xffffff                               // 00000000329C: 8652FF52 00FFFFFF
	v_mul_lo_u32 v7, v4, s82                                   // 0000000032A4: D2850007 0000A504
	v_add_u32_e32 v66, v6, v7                                  // 0000000032AC: 68840F06
	v_mul_lo_u32 v66, v66, s68                                 // 0000000032B0: D2850042 00008942
	v_readlane_b32 s82, v3, 18                                 // 0000000032B8: D2890052 00012503
	s_and_b32 s82, s82, 0xffffff                               // 0000000032C0: 8652FF52 00FFFFFF
	v_mul_lo_u32 v6, v5, s82                                   // 0000000032C8: D2850006 0000A505
	v_readlane_b32 s82, v3, 19                                 // 0000000032D0: D2890052 00012703
	s_and_b32 s82, s82, 0xffffff                               // 0000000032D8: 8652FF52 00FFFFFF
	v_mul_lo_u32 v7, v4, s82                                   // 0000000032E0: D2850007 0000A504
	v_add_u32_e32 v67, v6, v7                                  // 0000000032E8: 68860F06
	v_mul_lo_u32 v67, v67, s68                                 // 0000000032EC: D2850043 00008943
	v_readlane_b32 s82, v3, 20                                 // 0000000032F4: D2890052 00012903
	s_and_b32 s82, s82, 0xffffff                               // 0000000032FC: 8652FF52 00FFFFFF
	v_mul_lo_u32 v6, v5, s82                                   // 000000003304: D2850006 0000A505
	v_readlane_b32 s82, v3, 21                                 // 00000000330C: D2890052 00012B03
	s_and_b32 s82, s82, 0xffffff                               // 000000003314: 8652FF52 00FFFFFF
	v_mul_lo_u32 v7, v4, s82                                   // 00000000331C: D2850007 0000A504
	v_add_u32_e32 v68, v6, v7                                  // 000000003324: 68880F06
	v_mul_lo_u32 v68, v68, s68                                 // 000000003328: D2850044 00008944
	v_readlane_b32 s82, v3, 22                                 // 000000003330: D2890052 00012D03
	s_and_b32 s82, s82, 0xffffff                               // 000000003338: 8652FF52 00FFFFFF
	v_mul_lo_u32 v6, v5, s82                                   // 000000003340: D2850006 0000A505
	v_readlane_b32 s82, v3, 23                                 // 000000003348: D2890052 00012F03
	s_and_b32 s82, s82, 0xffffff                               // 000000003350: 8652FF52 00FFFFFF
	v_mul_lo_u32 v7, v4, s82                                   // 000000003358: D2850007 0000A504
	v_add_u32_e32 v69, v6, v7                                  // 000000003360: 688A0F06
	v_mul_lo_u32 v69, v69, s68                                 // 000000003364: D2850045 00008945
	v_readlane_b32 s82, v3, 24                                 // 00000000336C: D2890052 00013103
	s_and_b32 s82, s82, 0xffffff                               // 000000003374: 8652FF52 00FFFFFF
	v_mul_lo_u32 v6, v5, s82                                   // 00000000337C: D2850006 0000A505
	v_readlane_b32 s82, v3, 25                                 // 000000003384: D2890052 00013303
	s_and_b32 s82, s82, 0xffffff                               // 00000000338C: 8652FF52 00FFFFFF
	v_mul_lo_u32 v7, v4, s82                                   // 000000003394: D2850007 0000A504
	v_add_u32_e32 v70, v6, v7                                  // 00000000339C: 688C0F06
	v_mul_lo_u32 v70, v70, s68                                 // 0000000033A0: D2850046 00008946
	v_readlane_b32 s82, v3, 26                                 // 0000000033A8: D2890052 00013503
	s_and_b32 s82, s82, 0xffffff                               // 0000000033B0: 8652FF52 00FFFFFF
	v_mul_lo_u32 v6, v5, s82                                   // 0000000033B8: D2850006 0000A505
	v_readlane_b32 s82, v3, 27                                 // 0000000033C0: D2890052 00013703
	s_and_b32 s82, s82, 0xffffff                               // 0000000033C8: 8652FF52 00FFFFFF
	v_mul_lo_u32 v7, v4, s82                                   // 0000000033D0: D2850007 0000A504
	v_add_u32_e32 v71, v6, v7                                  // 0000000033D8: 688E0F06
	v_mul_lo_u32 v71, v71, s68                                 // 0000000033DC: D2850047 00008947
	v_and_b32_e32 v4, 31, v0                                   // 0000000033E4: 2608009F
	v_lshlrev_b32_e32 v4, 2, v4                                // 0000000033E8: 24080882
	v_add_u32_e32 v58, v58, v4                                 // 0000000033EC: 6874093A
	v_add_u32_e32 v59, v59, v4                                 // 0000000033F0: 6876093B
	v_add_u32_e32 v60, v60, v4                                 // 0000000033F4: 6878093C
	v_add_u32_e32 v61, v61, v4                                 // 0000000033F8: 687A093D
	v_add_u32_e32 v62, v62, v4                                 // 0000000033FC: 687C093E
	v_add_u32_e32 v63, v63, v4                                 // 000000003400: 687E093F
	v_add_u32_e32 v64, v64, v4                                 // 000000003404: 68800940
	v_add_u32_e32 v65, v65, v4                                 // 000000003408: 68820941
	v_add_u32_e32 v66, v66, v4                                 // 00000000340C: 68840942
	v_add_u32_e32 v67, v67, v4                                 // 000000003410: 68860943
	v_add_u32_e32 v68, v68, v4                                 // 000000003414: 68880944
	v_add_u32_e32 v69, v69, v4                                 // 000000003418: 688A0945
	v_add_u32_e32 v70, v70, v4                                 // 00000000341C: 688C0946
	v_add_u32_e32 v71, v71, v4                                 // 000000003420: 688E0947
	v_and_b32_e32 v30, 0xffffff, v30                           // 000000003424: 263C3CFF 00FFFFFF
	v_lshlrev_b32_e32 v30, 2, v30                              // 00000000342C: 243C3C82
	v_and_b32_e32 v31, 0xffffff, v31                           // 000000003430: 263E3EFF 00FFFFFF
	v_lshlrev_b32_e32 v31, 2, v31                              // 000000003438: 243E3E82
	v_and_b32_e32 v32, 0xffffff, v32                           // 00000000343C: 264040FF 00FFFFFF
	v_lshlrev_b32_e32 v32, 2, v32                              // 000000003444: 24404082
	v_and_b32_e32 v33, 0xffffff, v33                           // 000000003448: 264242FF 00FFFFFF
	v_lshlrev_b32_e32 v33, 2, v33                              // 000000003450: 24424282
	v_and_b32_e32 v34, 0xffffff, v34                           // 000000003454: 264444FF 00FFFFFF
	v_lshlrev_b32_e32 v34, 2, v34                              // 00000000345C: 24444482
	v_and_b32_e32 v35, 0xffffff, v35                           // 000000003460: 264646FF 00FFFFFF
	v_lshlrev_b32_e32 v35, 2, v35                              // 000000003468: 24464682
	v_and_b32_e32 v36, 0xffffff, v36                           // 00000000346C: 264848FF 00FFFFFF
	v_lshlrev_b32_e32 v36, 2, v36                              // 000000003474: 24484882
	s_lshl_b32 s3, s66, 2                                      // 000000003478: 8E038242
	buffer_load_dword v58, s[20:23], 0 offen lds               // 00000000347C: E0511000 8005003A
	s_add_u32 m0, 0x100, s48                                   // 000000003484: 807C30FF 00000100
	buffer_load_dword v59, s[20:23], 0 offen lds               // 00000000348C: E0511000 8005003B
	s_add_u32 m0, 0x200, s48                                   // 000000003494: 807C30FF 00000200
	buffer_load_dword v60, s[20:23], 0 offen lds               // 00000000349C: E0511000 8005003C
	s_add_u32 m0, 0x300, s48                                   // 0000000034A4: 807C30FF 00000300
	buffer_load_dword v61, s[20:23], 0 offen lds               // 0000000034AC: E0511000 8005003D
	s_add_u32 m0, 0x400, s48                                   // 0000000034B4: 807C30FF 00000400
	buffer_load_dword v62, s[20:23], 0 offen lds               // 0000000034BC: E0511000 8005003E
	s_add_u32 m0, 0x500, s48                                   // 0000000034C4: 807C30FF 00000500
	buffer_load_dword v63, s[20:23], 0 offen lds               // 0000000034CC: E0511000 8005003F
	s_add_u32 m0, 0x600, s48                                   // 0000000034D4: 807C30FF 00000600
	buffer_load_dword v64, s[20:23], 0 offen lds               // 0000000034DC: E0511000 80050040
	s_add_u32 m0, 0x700, s48                                   // 0000000034E4: 807C30FF 00000700
	buffer_load_dword v65, s[20:23], 0 offen lds               // 0000000034EC: E0511000 80050041
	s_add_u32 m0, 0x800, s48                                   // 0000000034F4: 807C30FF 00000800
	buffer_load_dword v66, s[20:23], 0 offen lds               // 0000000034FC: E0511000 80050042
	s_add_u32 m0, 0x900, s48                                   // 000000003504: 807C30FF 00000900
	buffer_load_dword v67, s[20:23], 0 offen lds               // 00000000350C: E0511000 80050043
	s_add_u32 m0, 0xa00, s48                                   // 000000003514: 807C30FF 00000A00
	buffer_load_dword v68, s[20:23], 0 offen lds               // 00000000351C: E0511000 80050044
	s_add_u32 m0, 0xb00, s48                                   // 000000003524: 807C30FF 00000B00
	buffer_load_dword v69, s[20:23], 0 offen lds               // 00000000352C: E0511000 80050045
	s_add_u32 m0, 0xc00, s48                                   // 000000003534: 807C30FF 00000C00
	buffer_load_dword v70, s[20:23], 0 offen lds               // 00000000353C: E0511000 80050046
	s_add_u32 m0, 0xd00, s48                                   // 000000003544: 807C30FF 00000D00
	buffer_load_dword v71, s[20:23], 0 offen lds               // 00000000354C: E0511000 80050047
	s_add_u32 m0, 0, s49                                       // 000000003554: 807C3180
	s_add_u32 s20, s57, s20                                    // 000000003558: 80141439
	s_addc_u32 s21, 0, s21                                     // 00000000355C: 82151580
	buffer_load_dword v37, v30, s[28:31], 0 offen              // 000000003560: E0501000 8007251E
	buffer_load_dword v38, v31, s[28:31], 0 offen              // 000000003568: E0501000 8007261F
	buffer_load_dword v39, v32, s[28:31], 0 offen              // 000000003570: E0501000 80072720
	buffer_load_dword v40, v33, s[28:31], 0 offen              // 000000003578: E0501000 80072821
	;; [unrolled: 1-line block ×3, first 2 shown]
	buffer_load_dword v42, v35, s[28:31], 0 offen              // 000000003588: E0501000 80072A23
	buffer_load_dword v43, v36, s[28:31], 0 offen              // 000000003590: E0501000 80072B24
	s_add_u32 s28, s3, s28                                     // 000000003598: 801C1C03
	s_addc_u32 s29, 0, s29                                     // 00000000359C: 821D1D80
	buffer_load_dwordx4 a[112:115], v72, s[24:27], 0 offen     // 0000000035A0: E05C1000 80867048
	buffer_load_dwordx4 a[116:119], v72, s[24:27], 0 offen offset:1024// 0000000035A8: E05C1400 80867448
	buffer_load_dwordx4 a[120:123], v73, s[24:27], 0 offen     // 0000000035B0: E05C1000 80867849
	buffer_load_dwordx4 a[124:127], v73, s[24:27], 0 offen offset:1024// 0000000035B8: E05C1400 80867C49
	s_add_u32 s24, s58, s24                                    // 0000000035C0: 8018183A
	s_addc_u32 s25, 0, s25                                     // 0000000035C4: 82191980
	buffer_load_dword v24, v22, s[32:35], 0 offen              // 0000000035C8: E0501000 80081816
	buffer_load_dword v58, s[20:23], 0 offen lds               // 0000000035D0: E0511000 8005003A
	s_add_u32 m0, 0x100, s49                                   // 0000000035D8: 807C31FF 00000100
	buffer_load_dword v59, s[20:23], 0 offen lds               // 0000000035E0: E0511000 8005003B
	s_add_u32 m0, 0x200, s49                                   // 0000000035E8: 807C31FF 00000200
	buffer_load_dword v60, s[20:23], 0 offen lds               // 0000000035F0: E0511000 8005003C
	s_add_u32 m0, 0x300, s49                                   // 0000000035F8: 807C31FF 00000300
	buffer_load_dword v61, s[20:23], 0 offen lds               // 000000003600: E0511000 8005003D
	s_add_u32 m0, 0x400, s49                                   // 000000003608: 807C31FF 00000400
	buffer_load_dword v62, s[20:23], 0 offen lds               // 000000003610: E0511000 8005003E
	s_add_u32 m0, 0x500, s49                                   // 000000003618: 807C31FF 00000500
	buffer_load_dword v63, s[20:23], 0 offen lds               // 000000003620: E0511000 8005003F
	s_add_u32 m0, 0x600, s49                                   // 000000003628: 807C31FF 00000600
	buffer_load_dword v64, s[20:23], 0 offen lds               // 000000003630: E0511000 80050040
	s_add_u32 m0, 0x700, s49                                   // 000000003638: 807C31FF 00000700
	buffer_load_dword v65, s[20:23], 0 offen lds               // 000000003640: E0511000 80050041
	;; [unrolled: 2-line block ×4, first 2 shown]
	s_add_u32 m0, 0xa00, s49                                   // 000000003668: 807C31FF 00000A00
	buffer_load_dword v68, s[20:23], 0 offen lds               // 000000003670: E0511000 80050044
	s_add_u32 m0, 0xb00, s49                                   // 000000003678: 807C31FF 00000B00
	buffer_load_dword v69, s[20:23], 0 offen lds               // 000000003680: E0511000 80050045
	s_add_u32 m0, 0xc00, s49                                   // 000000003688: 807C31FF 00000C00
	buffer_load_dword v70, s[20:23], 0 offen lds               // 000000003690: E0511000 80050046
	s_add_u32 m0, 0xd00, s49                                   // 000000003698: 807C31FF 00000D00
	buffer_load_dword v71, s[20:23], 0 offen lds               // 0000000036A0: E0511000 80050047
	s_add_u32 m0, 0, s50                                       // 0000000036A8: 807C3280
	s_add_u32 s20, s57, s20                                    // 0000000036AC: 80141439
	s_addc_u32 s21, 0, s21                                     // 0000000036B0: 82151580
	buffer_load_dword v44, v30, s[28:31], 0 offen              // 0000000036B4: E0501000 80072C1E
	buffer_load_dword v45, v31, s[28:31], 0 offen              // 0000000036BC: E0501000 80072D1F
	buffer_load_dword v46, v32, s[28:31], 0 offen              // 0000000036C4: E0501000 80072E20
	buffer_load_dword v47, v33, s[28:31], 0 offen              // 0000000036CC: E0501000 80072F21
	buffer_load_dword v48, v34, s[28:31], 0 offen              // 0000000036D4: E0501000 80073022
	buffer_load_dword v49, v35, s[28:31], 0 offen              // 0000000036DC: E0501000 80073123
	buffer_load_dword v50, v36, s[28:31], 0 offen              // 0000000036E4: E0501000 80073224
	s_add_u32 s28, s3, s28                                     // 0000000036EC: 801C1C03
	s_addc_u32 s29, 0, s29                                     // 0000000036F0: 821D1D80
	buffer_load_dwordx4 a[128:131], v72, s[84:87], 0 offen     // 0000000036F4: E05C1000 80958048
	buffer_load_dwordx4 a[132:135], v72, s[84:87], 0 offen offset:1024// 0000000036FC: E05C1400 80958448
	buffer_load_dwordx4 a[136:139], v73, s[84:87], 0 offen     // 000000003704: E05C1000 80958849
	buffer_load_dwordx4 a[140:143], v73, s[84:87], 0 offen offset:1024// 00000000370C: E05C1400 80958C49
	s_add_u32 s84, s83, s84                                    // 000000003714: 80545453
	s_addc_u32 s85, 0, s85                                     // 000000003718: 82555580
	buffer_load_dword v27, v23, s[32:35], 0 offen              // 00000000371C: E0501000 80081B17
	s_add_u32 s32, s4, s32                                     // 000000003724: 80202004
	s_addc_u32 s33, 0, s33                                     // 000000003728: 82212180
	s_waitcnt vmcnt(38)                                        // 00000000372C: BF8C8F76
	s_barrier                                                  // 000000003730: BF8A0000
	ds_read_b128 a[0:3], v2                                    // 000000003734: DBFE0000 00000002
	ds_read_b128 a[4:7], v2 offset:64                          // 00000000373C: DBFE0040 04000002
	ds_read_b128 a[8:11], v2 offset:512                        // 000000003744: DBFE0200 08000002
	ds_read_b128 a[12:15], v2 offset:576                       // 00000000374C: DBFE0240 0C000002
	ds_read_b128 a[16:19], v2 offset:1024                      // 000000003754: DBFE0400 10000002
	ds_read_b128 a[20:23], v2 offset:1088                      // 00000000375C: DBFE0440 14000002
	ds_read_b128 a[24:27], v2 offset:1536                      // 000000003764: DBFE0600 18000002
	ds_read_b128 a[28:31], v2 offset:1600                      // 00000000376C: DBFE0640 1C000002
	ds_read_b128 a[32:35], v2 offset:2048                      // 000000003774: DBFE0800 20000002
	ds_read_b128 a[36:39], v2 offset:2112                      // 00000000377C: DBFE0840 24000002
	ds_read_b128 a[40:43], v2 offset:2560                      // 000000003784: DBFE0A00 28000002
	ds_read_b128 a[44:47], v2 offset:2624                      // 00000000378C: DBFE0A40 2C000002
	ds_read_b128 a[48:51], v2 offset:3072                      // 000000003794: DBFE0C00 30000002
	ds_read_b128 a[52:55], v2 offset:3136                      // 00000000379C: DBFE0C40 34000002
	s_cmp_lt_i32 s7, 2                                         // 0000000037A4: BF048207
	s_cbranch_scc0 label_227F                                  // 0000000037A8: BF841F11

00000000000037ac <label_036B>:
	s_waitcnt vmcnt(26) lgkmcnt(0)                             // 0000000037AC: BF8C407A
	v_mul_f32_dpp v4, v24, v37 row_newbcast:0 row_mask:0xf bank_mask:0xf// 0000000037B0: 0A084AFA FF015018
	v_mfma_f32_16x16x32_fp8_fp8 v[8:11], a[112:113], a[0:1], 0 // 0000000037B8: D3F30008 1A020170
	buffer_load_dword v25, v22, s[32:35], 0 offen              // 0000000037C0: E0501000 80081916
	v_mfma_f32_16x16x32_fp8_fp8 v[8:11], a[114:115], a[2:3], v[8:11]// 0000000037C8: D3F30008 1C220572
	buffer_load_dwordx4 a[144:147], v72, s[24:27], 0 offen     // 0000000037D0: E05C1000 80869048
	v_mfma_f32_16x16x32_fp8_fp8 v[8:11], a[116:117], a[4:5], v[8:11]// 0000000037D8: D3F30008 1C220974
	v_mfma_f32_16x16x32_fp8_fp8 v[8:11], a[118:119], a[6:7], v[8:11]// 0000000037E0: D3F30008 1C220D76
	v_mfma_f32_16x16x32_fp8_fp8 v[12:15], a[120:121], a[0:1], 0// 0000000037E8: D3F3000C 1A020178
	v_mfma_f32_16x16x32_fp8_fp8 v[12:15], a[122:123], a[2:3], v[12:15]// 0000000037F0: D3F3000C 1C32057A
	buffer_load_dwordx4 a[148:151], v72, s[24:27], 0 offen offset:1024// 0000000037F8: E05C1400 80869448
	v_mfma_f32_16x16x32_fp8_fp8 v[12:15], a[124:125], a[4:5], v[12:15]// 000000003800: D3F3000C 1C32097C
	v_mfma_f32_16x16x32_fp8_fp8 v[12:15], a[126:127], a[6:7], v[12:15]// 000000003808: D3F3000C 1C320D7E
	v_fma_f32 v76, v8, v4, v76                                 // 000000003810: D1CB004C 05320908
	v_fma_f32 v77, v9, v4, v77                                 // 000000003818: D1CB004D 05360909
	v_fma_f32 v78, v10, v4, v78                                // 000000003820: D1CB004E 053A090A
	v_fma_f32 v79, v11, v4, v79                                // 000000003828: D1CB004F 053E090B
	v_mul_f32_dpp v6, v24, v38 row_newbcast:0 row_mask:0xf bank_mask:0xf// 000000003830: 0A0C4CFA FF015018
	v_mfma_f32_16x16x32_fp8_fp8 v[8:11], a[112:113], a[8:9], 0 // 000000003838: D3F30008 1A021170
	v_mfma_f32_16x16x32_fp8_fp8 v[8:11], a[114:115], a[10:11], v[8:11]// 000000003840: D3F30008 1C221572
	buffer_load_dwordx4 a[152:155], v73, s[24:27], 0 offen     // 000000003848: E05C1000 80869849
	v_mfma_f32_16x16x32_fp8_fp8 v[8:11], a[116:117], a[12:13], v[8:11]// 000000003850: D3F30008 1C221974
	v_mfma_f32_16x16x32_fp8_fp8 v[8:11], a[118:119], a[14:15], v[8:11]// 000000003858: D3F30008 1C221D76
	v_fma_f32 v104, v12, v4, v104                              // 000000003860: D1CB0068 05A2090C
	v_fma_f32 v105, v13, v4, v105                              // 000000003868: D1CB0069 05A6090D
	v_fma_f32 v106, v14, v4, v106                              // 000000003870: D1CB006A 05AA090E
	v_fma_f32 v107, v15, v4, v107                              // 000000003878: D1CB006B 05AE090F
	v_mfma_f32_16x16x32_fp8_fp8 v[12:15], a[120:121], a[8:9], 0// 000000003880: D3F3000C 1A021178
	v_mfma_f32_16x16x32_fp8_fp8 v[12:15], a[122:123], a[10:11], v[12:15]// 000000003888: D3F3000C 1C32157A
	buffer_load_dwordx4 a[156:159], v73, s[24:27], 0 offen offset:1024// 000000003890: E05C1400 80869C49
	buffer_load_dword v58, s[20:23], 0 offen lds               // 000000003898: E0511000 8005003A
	s_add_u32 m0, 0x100, s50                                   // 0000000038A0: 807C32FF 00000100
	v_mfma_f32_16x16x32_fp8_fp8 v[12:15], a[124:125], a[12:13], v[12:15]// 0000000038A8: D3F3000C 1C32197C
	v_mfma_f32_16x16x32_fp8_fp8 v[12:15], a[126:127], a[14:15], v[12:15]// 0000000038B0: D3F3000C 1C321D7E
	buffer_load_dword v59, s[20:23], 0 offen lds               // 0000000038B8: E0511000 8005003B
	s_add_u32 m0, 0x200, s50                                   // 0000000038C0: 807C32FF 00000200
	v_fma_f32 v80, v8, v6, v80                                 // 0000000038C8: D1CB0050 05420D08
	v_fma_f32 v81, v9, v6, v81                                 // 0000000038D0: D1CB0051 05460D09
	v_fma_f32 v82, v10, v6, v82                                // 0000000038D8: D1CB0052 054A0D0A
	v_fma_f32 v83, v11, v6, v83                                // 0000000038E0: D1CB0053 054E0D0B
	v_mul_f32_dpp v4, v24, v39 row_newbcast:0 row_mask:0xf bank_mask:0xf// 0000000038E8: 0A084EFA FF015018
	v_mfma_f32_16x16x32_fp8_fp8 v[8:11], a[112:113], a[16:17], 0// 0000000038F0: D3F30008 1A022170
	v_mfma_f32_16x16x32_fp8_fp8 v[8:11], a[114:115], a[18:19], v[8:11]// 0000000038F8: D3F30008 1C222572
	buffer_load_dword v60, s[20:23], 0 offen lds               // 000000003900: E0511000 8005003C
	s_add_u32 m0, 0x300, s50                                   // 000000003908: 807C32FF 00000300
	v_mfma_f32_16x16x32_fp8_fp8 v[8:11], a[116:117], a[20:21], v[8:11]// 000000003910: D3F30008 1C222974
	v_mfma_f32_16x16x32_fp8_fp8 v[8:11], a[118:119], a[22:23], v[8:11]// 000000003918: D3F30008 1C222D76
	buffer_load_dword v61, s[20:23], 0 offen lds               // 000000003920: E0511000 8005003D
	s_add_u32 m0, 0x400, s50                                   // 000000003928: 807C32FF 00000400
	v_fma_f32 v108, v12, v6, v108                              // 000000003930: D1CB006C 05B20D0C
	v_fma_f32 v109, v13, v6, v109                              // 000000003938: D1CB006D 05B60D0D
	v_fma_f32 v110, v14, v6, v110                              // 000000003940: D1CB006E 05BA0D0E
	v_fma_f32 v111, v15, v6, v111                              // 000000003948: D1CB006F 05BE0D0F
	v_mfma_f32_16x16x32_fp8_fp8 v[12:15], a[120:121], a[16:17], 0// 000000003950: D3F3000C 1A022178
	v_mfma_f32_16x16x32_fp8_fp8 v[12:15], a[122:123], a[18:19], v[12:15]// 000000003958: D3F3000C 1C32257A
	buffer_load_dword v62, s[20:23], 0 offen lds               // 000000003960: E0511000 8005003E
	s_add_u32 m0, 0x500, s50                                   // 000000003968: 807C32FF 00000500
	v_mfma_f32_16x16x32_fp8_fp8 v[12:15], a[124:125], a[20:21], v[12:15]// 000000003970: D3F3000C 1C32297C
	v_mfma_f32_16x16x32_fp8_fp8 v[12:15], a[126:127], a[22:23], v[12:15]// 000000003978: D3F3000C 1C322D7E
	buffer_load_dword v63, s[20:23], 0 offen lds               // 000000003980: E0511000 8005003F
	s_add_u32 m0, 0x600, s50                                   // 000000003988: 807C32FF 00000600
	v_fma_f32 v84, v8, v4, v84                                 // 000000003990: D1CB0054 05520908
	v_fma_f32 v85, v9, v4, v85                                 // 000000003998: D1CB0055 05560909
	v_fma_f32 v86, v10, v4, v86                                // 0000000039A0: D1CB0056 055A090A
	v_fma_f32 v87, v11, v4, v87                                // 0000000039A8: D1CB0057 055E090B
	v_mul_f32_dpp v6, v24, v40 row_newbcast:0 row_mask:0xf bank_mask:0xf// 0000000039B0: 0A0C50FA FF015018
	v_mfma_f32_16x16x32_fp8_fp8 v[8:11], a[112:113], a[24:25], 0// 0000000039B8: D3F30008 1A023170
	v_mfma_f32_16x16x32_fp8_fp8 v[8:11], a[114:115], a[26:27], v[8:11]// 0000000039C0: D3F30008 1C223572
	buffer_load_dword v64, s[20:23], 0 offen lds               // 0000000039C8: E0511000 80050040
	s_add_u32 m0, 0x700, s50                                   // 0000000039D0: 807C32FF 00000700
	v_mfma_f32_16x16x32_fp8_fp8 v[8:11], a[116:117], a[28:29], v[8:11]// 0000000039D8: D3F30008 1C223974
	v_mfma_f32_16x16x32_fp8_fp8 v[8:11], a[118:119], a[30:31], v[8:11]// 0000000039E0: D3F30008 1C223D76
	buffer_load_dword v65, s[20:23], 0 offen lds               // 0000000039E8: E0511000 80050041
	s_add_u32 m0, 0x800, s50                                   // 0000000039F0: 807C32FF 00000800
	v_fma_f32 v112, v12, v4, v112                              // 0000000039F8: D1CB0070 05C2090C
	v_fma_f32 v113, v13, v4, v113                              // 000000003A00: D1CB0071 05C6090D
	v_fma_f32 v114, v14, v4, v114                              // 000000003A08: D1CB0072 05CA090E
	v_fma_f32 v115, v15, v4, v115                              // 000000003A10: D1CB0073 05CE090F
	v_mfma_f32_16x16x32_fp8_fp8 v[12:15], a[120:121], a[24:25], 0// 000000003A18: D3F3000C 1A023178
	v_mfma_f32_16x16x32_fp8_fp8 v[12:15], a[122:123], a[26:27], v[12:15]// 000000003A20: D3F3000C 1C32357A
	buffer_load_dword v66, s[20:23], 0 offen lds               // 000000003A28: E0511000 80050042
	s_add_u32 m0, 0x900, s50                                   // 000000003A30: 807C32FF 00000900
	v_mfma_f32_16x16x32_fp8_fp8 v[12:15], a[124:125], a[28:29], v[12:15]// 000000003A38: D3F3000C 1C32397C
	v_mfma_f32_16x16x32_fp8_fp8 v[12:15], a[126:127], a[30:31], v[12:15]// 000000003A40: D3F3000C 1C323D7E
	buffer_load_dword v67, s[20:23], 0 offen lds               // 000000003A48: E0511000 80050043
	s_add_u32 m0, 0xa00, s50                                   // 000000003A50: 807C32FF 00000A00
	v_fma_f32 v88, v8, v6, v88                                 // 000000003A58: D1CB0058 05620D08
	v_fma_f32 v89, v9, v6, v89                                 // 000000003A60: D1CB0059 05660D09
	v_fma_f32 v90, v10, v6, v90                                // 000000003A68: D1CB005A 056A0D0A
	v_fma_f32 v91, v11, v6, v91                                // 000000003A70: D1CB005B 056E0D0B
	v_mul_f32_dpp v4, v24, v41 row_newbcast:0 row_mask:0xf bank_mask:0xf// 000000003A78: 0A0852FA FF015018
	v_mfma_f32_16x16x32_fp8_fp8 v[8:11], a[112:113], a[32:33], 0// 000000003A80: D3F30008 1A024170
	v_mfma_f32_16x16x32_fp8_fp8 v[8:11], a[114:115], a[34:35], v[8:11]// 000000003A88: D3F30008 1C224572
	buffer_load_dword v68, s[20:23], 0 offen lds               // 000000003A90: E0511000 80050044
	s_add_u32 m0, 0xb00, s50                                   // 000000003A98: 807C32FF 00000B00
	v_mfma_f32_16x16x32_fp8_fp8 v[8:11], a[116:117], a[36:37], v[8:11]// 000000003AA0: D3F30008 1C224974
	v_mfma_f32_16x16x32_fp8_fp8 v[8:11], a[118:119], a[38:39], v[8:11]// 000000003AA8: D3F30008 1C224D76
	buffer_load_dword v69, s[20:23], 0 offen lds               // 000000003AB0: E0511000 80050045
	s_add_u32 m0, 0xc00, s50                                   // 000000003AB8: 807C32FF 00000C00
	v_fma_f32 v116, v12, v6, v116                              // 000000003AC0: D1CB0074 05D20D0C
	v_fma_f32 v117, v13, v6, v117                              // 000000003AC8: D1CB0075 05D60D0D
	v_fma_f32 v118, v14, v6, v118                              // 000000003AD0: D1CB0076 05DA0D0E
	v_fma_f32 v119, v15, v6, v119                              // 000000003AD8: D1CB0077 05DE0D0F
	v_mfma_f32_16x16x32_fp8_fp8 v[12:15], a[120:121], a[32:33], 0// 000000003AE0: D3F3000C 1A024178
	v_mfma_f32_16x16x32_fp8_fp8 v[12:15], a[122:123], a[34:35], v[12:15]// 000000003AE8: D3F3000C 1C32457A
	buffer_load_dword v70, s[20:23], 0 offen lds               // 000000003AF0: E0511000 80050046
	s_add_u32 m0, 0xd00, s50                                   // 000000003AF8: 807C32FF 00000D00
	v_mfma_f32_16x16x32_fp8_fp8 v[12:15], a[124:125], a[36:37], v[12:15]// 000000003B00: D3F3000C 1C32497C
	v_mfma_f32_16x16x32_fp8_fp8 v[12:15], a[126:127], a[38:39], v[12:15]// 000000003B08: D3F3000C 1C324D7E
	buffer_load_dword v71, s[20:23], 0 offen lds               // 000000003B10: E0511000 80050047
	s_add_u32 m0, 0, s48                                       // 000000003B18: 807C3080
	v_fma_f32 v92, v8, v4, v92                                 // 000000003B1C: D1CB005C 05720908
	v_fma_f32 v93, v9, v4, v93                                 // 000000003B24: D1CB005D 05760909
	v_fma_f32 v94, v10, v4, v94                                // 000000003B2C: D1CB005E 057A090A
	v_fma_f32 v95, v11, v4, v95                                // 000000003B34: D1CB005F 057E090B
	v_mul_f32_dpp v6, v24, v42 row_newbcast:0 row_mask:0xf bank_mask:0xf// 000000003B3C: 0A0C54FA FF015018
	v_mfma_f32_16x16x32_fp8_fp8 v[8:11], a[112:113], a[40:41], 0// 000000003B44: D3F30008 1A025170
	v_mfma_f32_16x16x32_fp8_fp8 v[8:11], a[114:115], a[42:43], v[8:11]// 000000003B4C: D3F30008 1C225572
	buffer_load_dword v51, v30, s[28:31], 0 offen              // 000000003B54: E0501000 8007331E
	v_mfma_f32_16x16x32_fp8_fp8 v[8:11], a[116:117], a[44:45], v[8:11]// 000000003B5C: D3F30008 1C225974
	v_mfma_f32_16x16x32_fp8_fp8 v[8:11], a[118:119], a[46:47], v[8:11]// 000000003B64: D3F30008 1C225D76
	buffer_load_dword v52, v31, s[28:31], 0 offen              // 000000003B6C: E0501000 8007341F
	v_fma_f32 v120, v12, v4, v120                              // 000000003B74: D1CB0078 05E2090C
	v_fma_f32 v121, v13, v4, v121                              // 000000003B7C: D1CB0079 05E6090D
	v_fma_f32 v122, v14, v4, v122                              // 000000003B84: D1CB007A 05EA090E
	v_fma_f32 v123, v15, v4, v123                              // 000000003B8C: D1CB007B 05EE090F
	v_mfma_f32_16x16x32_fp8_fp8 v[12:15], a[120:121], a[40:41], 0// 000000003B94: D3F3000C 1A025178
	v_mfma_f32_16x16x32_fp8_fp8 v[12:15], a[122:123], a[42:43], v[12:15]// 000000003B9C: D3F3000C 1C32557A
	buffer_load_dword v53, v32, s[28:31], 0 offen              // 000000003BA4: E0501000 80073520
	v_mfma_f32_16x16x32_fp8_fp8 v[12:15], a[124:125], a[44:45], v[12:15]// 000000003BAC: D3F3000C 1C32597C
	v_mfma_f32_16x16x32_fp8_fp8 v[12:15], a[126:127], a[46:47], v[12:15]// 000000003BB4: D3F3000C 1C325D7E
	buffer_load_dword v54, v33, s[28:31], 0 offen              // 000000003BBC: E0501000 80073621
	v_fma_f32 v96, v8, v6, v96                                 // 000000003BC4: D1CB0060 05820D08
	v_fma_f32 v97, v9, v6, v97                                 // 000000003BCC: D1CB0061 05860D09
	v_fma_f32 v98, v10, v6, v98                                // 000000003BD4: D1CB0062 058A0D0A
	v_fma_f32 v99, v11, v6, v99                                // 000000003BDC: D1CB0063 058E0D0B
	v_mul_f32_dpp v4, v24, v43 row_newbcast:0 row_mask:0xf bank_mask:0xf// 000000003BE4: 0A0856FA FF015018
	v_mfma_f32_16x16x32_fp8_fp8 v[8:11], a[112:113], a[48:49], 0// 000000003BEC: D3F30008 1A026170
	v_mfma_f32_16x16x32_fp8_fp8 v[8:11], a[114:115], a[50:51], v[8:11]// 000000003BF4: D3F30008 1C226572
	buffer_load_dword v55, v34, s[28:31], 0 offen              // 000000003BFC: E0501000 80073722
	v_mfma_f32_16x16x32_fp8_fp8 v[8:11], a[116:117], a[52:53], v[8:11]// 000000003C04: D3F30008 1C226974
	v_mfma_f32_16x16x32_fp8_fp8 v[8:11], a[118:119], a[54:55], v[8:11]// 000000003C0C: D3F30008 1C226D76
	buffer_load_dword v56, v35, s[28:31], 0 offen              // 000000003C14: E0501000 80073823
	v_fma_f32 v124, v12, v6, v124                              // 000000003C1C: D1CB007C 05F20D0C
	v_fma_f32 v125, v13, v6, v125                              // 000000003C24: D1CB007D 05F60D0D
	v_fma_f32 v126, v14, v6, v126                              // 000000003C2C: D1CB007E 05FA0D0E
	v_fma_f32 v127, v15, v6, v127                              // 000000003C34: D1CB007F 05FE0D0F
	v_mfma_f32_16x16x32_fp8_fp8 v[12:15], a[120:121], a[48:49], 0// 000000003C3C: D3F3000C 1A026178
	v_mfma_f32_16x16x32_fp8_fp8 v[12:15], a[122:123], a[50:51], v[12:15]// 000000003C44: D3F3000C 1C32657A
	buffer_load_dword v57, v36, s[28:31], 0 offen              // 000000003C4C: E0501000 80073924
	v_mfma_f32_16x16x32_fp8_fp8 v[12:15], a[124:125], a[52:53], v[12:15]// 000000003C54: D3F3000C 1C32697C
	v_mfma_f32_16x16x32_fp8_fp8 v[12:15], a[126:127], a[54:55], v[12:15]// 000000003C5C: D3F3000C 1C326D7E
	v_fma_f32 v100, v8, v4, v100                               // 000000003C64: D1CB0064 05920908
	v_fma_f32 v101, v9, v4, v101                               // 000000003C6C: D1CB0065 05960909
	v_fma_f32 v102, v10, v4, v102                              // 000000003C74: D1CB0066 059A090A
	v_fma_f32 v103, v11, v4, v103                              // 000000003C7C: D1CB0067 059E090B
	v_fma_f32 v128, v12, v4, v128                              // 000000003C84: D1CB0080 0602090C
	v_fma_f32 v129, v13, v4, v129                              // 000000003C8C: D1CB0081 0606090D
	v_fma_f32 v130, v14, v4, v130                              // 000000003C94: D1CB0082 060A090E
	v_fma_f32 v131, v15, v4, v131                              // 000000003C9C: D1CB0083 060E090F
	s_waitcnt vmcnt(26)                                        // 000000003CA4: BF8C4F7A
	s_barrier                                                  // 000000003CA8: BF8A0000
	v_mul_f32_dpp v4, v27, v37 row_newbcast:0 row_mask:0xf bank_mask:0xf// 000000003CAC: 0A084AFA FF01501B
	v_mfma_f32_16x16x32_fp8_fp8 v[8:11], a[128:129], a[0:1], 0 // 000000003CB4: D3F30008 1A020180
	buffer_load_dword v28, v23, s[32:35], 0 offen              // 000000003CBC: E0501000 80081C17
	v_mfma_f32_16x16x32_fp8_fp8 v[8:11], a[130:131], a[2:3], v[8:11]// 000000003CC4: D3F30008 1C220582
	buffer_load_dwordx4 a[112:115], v72, s[84:87], 0 offen     // 000000003CCC: E05C1000 80957048
	v_mfma_f32_16x16x32_fp8_fp8 v[8:11], a[132:133], a[4:5], v[8:11]// 000000003CD4: D3F30008 1C220984
	v_mfma_f32_16x16x32_fp8_fp8 v[8:11], a[134:135], a[6:7], v[8:11]// 000000003CDC: D3F30008 1C220D86
	ds_read_b128 a[56:59], v2 offset:14464                     // 000000003CE4: DBFE3880 38000002
	ds_read_b128 a[60:63], v2 offset:14528                     // 000000003CEC: DBFE38C0 3C000002
	v_mfma_f32_16x16x32_fp8_fp8 v[12:15], a[136:137], a[0:1], 0// 000000003CF4: D3F3000C 1A020188
	v_mfma_f32_16x16x32_fp8_fp8 v[12:15], a[138:139], a[2:3], v[12:15]// 000000003CFC: D3F3000C 1C32058A
	buffer_load_dwordx4 a[116:119], v72, s[84:87], 0 offen offset:1024// 000000003D04: E05C1400 80957448
	v_mfma_f32_16x16x32_fp8_fp8 v[12:15], a[140:141], a[4:5], v[12:15]// 000000003D0C: D3F3000C 1C32098C
	v_mfma_f32_16x16x32_fp8_fp8 v[12:15], a[142:143], a[6:7], v[12:15]// 000000003D14: D3F3000C 1C320D8E
	ds_read_b128 a[64:67], v2 offset:14976                     // 000000003D1C: DBFE3A80 40000002
	ds_read_b128 a[68:71], v2 offset:15040                     // 000000003D24: DBFE3AC0 44000002
	v_fma_f32 v132, v8, v4, v132                               // 000000003D2C: D1CB0084 06120908
	v_fma_f32 v133, v9, v4, v133                               // 000000003D34: D1CB0085 06160909
	v_fma_f32 v134, v10, v4, v134                              // 000000003D3C: D1CB0086 061A090A
	v_fma_f32 v135, v11, v4, v135                              // 000000003D44: D1CB0087 061E090B
	v_mul_f32_dpp v6, v27, v38 row_newbcast:0 row_mask:0xf bank_mask:0xf// 000000003D4C: 0A0C4CFA FF01501B
	v_mfma_f32_16x16x32_fp8_fp8 v[8:11], a[128:129], a[8:9], 0 // 000000003D54: D3F30008 1A021180
	v_mfma_f32_16x16x32_fp8_fp8 v[8:11], a[130:131], a[10:11], v[8:11]// 000000003D5C: D3F30008 1C221582
	buffer_load_dwordx4 a[120:123], v73, s[84:87], 0 offen     // 000000003D64: E05C1000 80957849
	v_mfma_f32_16x16x32_fp8_fp8 v[8:11], a[132:133], a[12:13], v[8:11]// 000000003D6C: D3F30008 1C221984
	v_mfma_f32_16x16x32_fp8_fp8 v[8:11], a[134:135], a[14:15], v[8:11]// 000000003D74: D3F30008 1C221D86
	ds_read_b128 a[72:75], v2 offset:15488                     // 000000003D7C: DBFE3C80 48000002
	ds_read_b128 a[76:79], v2 offset:15552                     // 000000003D84: DBFE3CC0 4C000002
	v_fma_f32 v160, v12, v4, v160                              // 000000003D8C: D1CB00A0 0682090C
	v_fma_f32 v161, v13, v4, v161                              // 000000003D94: D1CB00A1 0686090D
	v_fma_f32 v162, v14, v4, v162                              // 000000003D9C: D1CB00A2 068A090E
	v_fma_f32 v163, v15, v4, v163                              // 000000003DA4: D1CB00A3 068E090F
	v_mfma_f32_16x16x32_fp8_fp8 v[12:15], a[136:137], a[8:9], 0// 000000003DAC: D3F3000C 1A021188
	v_mfma_f32_16x16x32_fp8_fp8 v[12:15], a[138:139], a[10:11], v[12:15]// 000000003DB4: D3F3000C 1C32158A
	buffer_load_dwordx4 a[124:127], v73, s[84:87], 0 offen offset:1024// 000000003DBC: E05C1400 80957C49
	v_mfma_f32_16x16x32_fp8_fp8 v[12:15], a[140:141], a[12:13], v[12:15]// 000000003DC4: D3F3000C 1C32198C
	v_mfma_f32_16x16x32_fp8_fp8 v[12:15], a[142:143], a[14:15], v[12:15]// 000000003DCC: D3F3000C 1C321D8E
	ds_read_b128 a[80:83], v2 offset:16000                     // 000000003DD4: DBFE3E80 50000002
	ds_read_b128 a[84:87], v2 offset:16064                     // 000000003DDC: DBFE3EC0 54000002
	v_fma_f32 v136, v8, v6, v136                               // 000000003DE4: D1CB0088 06220D08
	v_fma_f32 v137, v9, v6, v137                               // 000000003DEC: D1CB0089 06260D09
	v_fma_f32 v138, v10, v6, v138                              // 000000003DF4: D1CB008A 062A0D0A
	v_fma_f32 v139, v11, v6, v139                              // 000000003DFC: D1CB008B 062E0D0B
	v_mul_f32_dpp v4, v27, v39 row_newbcast:0 row_mask:0xf bank_mask:0xf// 000000003E04: 0A084EFA FF01501B
	v_mfma_f32_16x16x32_fp8_fp8 v[8:11], a[128:129], a[16:17], 0// 000000003E0C: D3F30008 1A022180
	v_mfma_f32_16x16x32_fp8_fp8 v[8:11], a[130:131], a[18:19], v[8:11]// 000000003E14: D3F30008 1C222582
	v_mfma_f32_16x16x32_fp8_fp8 v[8:11], a[132:133], a[20:21], v[8:11]// 000000003E1C: D3F30008 1C222984
	v_mfma_f32_16x16x32_fp8_fp8 v[8:11], a[134:135], a[22:23], v[8:11]// 000000003E24: D3F30008 1C222D86
	ds_read_b128 a[88:91], v2 offset:16512                     // 000000003E2C: DBFE4080 58000002
	ds_read_b128 a[92:95], v2 offset:16576                     // 000000003E34: DBFE40C0 5C000002
	v_fma_f32 v164, v12, v6, v164                              // 000000003E3C: D1CB00A4 06920D0C
	v_fma_f32 v165, v13, v6, v165                              // 000000003E44: D1CB00A5 06960D0D
	v_fma_f32 v166, v14, v6, v166                              // 000000003E4C: D1CB00A6 069A0D0E
	v_fma_f32 v167, v15, v6, v167                              // 000000003E54: D1CB00A7 069E0D0F
	v_mfma_f32_16x16x32_fp8_fp8 v[12:15], a[136:137], a[16:17], 0// 000000003E5C: D3F3000C 1A022188
	v_mfma_f32_16x16x32_fp8_fp8 v[12:15], a[138:139], a[18:19], v[12:15]// 000000003E64: D3F3000C 1C32258A
	v_mfma_f32_16x16x32_fp8_fp8 v[12:15], a[140:141], a[20:21], v[12:15]// 000000003E6C: D3F3000C 1C32298C
	v_mfma_f32_16x16x32_fp8_fp8 v[12:15], a[142:143], a[22:23], v[12:15]// 000000003E74: D3F3000C 1C322D8E
	ds_read_b128 a[96:99], v2 offset:17024                     // 000000003E7C: DBFE4280 60000002
	ds_read_b128 a[100:103], v2 offset:17088                   // 000000003E84: DBFE42C0 64000002
	v_fma_f32 v140, v8, v4, v140                               // 000000003E8C: D1CB008C 06320908
	v_fma_f32 v141, v9, v4, v141                               // 000000003E94: D1CB008D 06360909
	v_fma_f32 v142, v10, v4, v142                              // 000000003E9C: D1CB008E 063A090A
	v_fma_f32 v143, v11, v4, v143                              // 000000003EA4: D1CB008F 063E090B
	v_mul_f32_dpp v6, v27, v40 row_newbcast:0 row_mask:0xf bank_mask:0xf// 000000003EAC: 0A0C50FA FF01501B
	v_mfma_f32_16x16x32_fp8_fp8 v[8:11], a[128:129], a[24:25], 0// 000000003EB4: D3F30008 1A023180
	v_mfma_f32_16x16x32_fp8_fp8 v[8:11], a[130:131], a[26:27], v[8:11]// 000000003EBC: D3F30008 1C223582
	v_mfma_f32_16x16x32_fp8_fp8 v[8:11], a[132:133], a[28:29], v[8:11]// 000000003EC4: D3F30008 1C223984
	v_mfma_f32_16x16x32_fp8_fp8 v[8:11], a[134:135], a[30:31], v[8:11]// 000000003ECC: D3F30008 1C223D86
	ds_read_b128 a[104:107], v2 offset:17536                   // 000000003ED4: DBFE4480 68000002
	ds_read_b128 a[108:111], v2 offset:17600                   // 000000003EDC: DBFE44C0 6C000002
	v_fma_f32 v168, v12, v4, v168                              // 000000003EE4: D1CB00A8 06A2090C
	v_fma_f32 v169, v13, v4, v169                              // 000000003EEC: D1CB00A9 06A6090D
	v_fma_f32 v170, v14, v4, v170                              // 000000003EF4: D1CB00AA 06AA090E
	v_fma_f32 v171, v15, v4, v171                              // 000000003EFC: D1CB00AB 06AE090F
	v_mfma_f32_16x16x32_fp8_fp8 v[12:15], a[136:137], a[24:25], 0// 000000003F04: D3F3000C 1A023188
	v_mfma_f32_16x16x32_fp8_fp8 v[12:15], a[138:139], a[26:27], v[12:15]// 000000003F0C: D3F3000C 1C32358A
	v_mfma_f32_16x16x32_fp8_fp8 v[12:15], a[140:141], a[28:29], v[12:15]// 000000003F14: D3F3000C 1C32398C
	v_mfma_f32_16x16x32_fp8_fp8 v[12:15], a[142:143], a[30:31], v[12:15]// 000000003F1C: D3F3000C 1C323D8E
	v_fma_f32 v144, v8, v6, v144                               // 000000003F24: D1CB0090 06420D08
	v_fma_f32 v145, v9, v6, v145                               // 000000003F2C: D1CB0091 06460D09
	v_fma_f32 v146, v10, v6, v146                              // 000000003F34: D1CB0092 064A0D0A
	v_fma_f32 v147, v11, v6, v147                              // 000000003F3C: D1CB0093 064E0D0B
	v_mul_f32_dpp v4, v27, v41 row_newbcast:0 row_mask:0xf bank_mask:0xf// 000000003F44: 0A0852FA FF01501B
	v_mfma_f32_16x16x32_fp8_fp8 v[8:11], a[128:129], a[32:33], 0// 000000003F4C: D3F30008 1A024180
	v_mfma_f32_16x16x32_fp8_fp8 v[8:11], a[130:131], a[34:35], v[8:11]// 000000003F54: D3F30008 1C224582
	v_mfma_f32_16x16x32_fp8_fp8 v[8:11], a[132:133], a[36:37], v[8:11]// 000000003F5C: D3F30008 1C224984
	v_mfma_f32_16x16x32_fp8_fp8 v[8:11], a[134:135], a[38:39], v[8:11]// 000000003F64: D3F30008 1C224D86
	v_fma_f32 v172, v12, v6, v172                              // 000000003F6C: D1CB00AC 06B20D0C
	v_fma_f32 v173, v13, v6, v173                              // 000000003F74: D1CB00AD 06B60D0D
	v_fma_f32 v174, v14, v6, v174                              // 000000003F7C: D1CB00AE 06BA0D0E
	v_fma_f32 v175, v15, v6, v175                              // 000000003F84: D1CB00AF 06BE0D0F
	v_mfma_f32_16x16x32_fp8_fp8 v[12:15], a[136:137], a[32:33], 0// 000000003F8C: D3F3000C 1A024188
	v_mfma_f32_16x16x32_fp8_fp8 v[12:15], a[138:139], a[34:35], v[12:15]// 000000003F94: D3F3000C 1C32458A
	v_mfma_f32_16x16x32_fp8_fp8 v[12:15], a[140:141], a[36:37], v[12:15]// 000000003F9C: D3F3000C 1C32498C
	v_mfma_f32_16x16x32_fp8_fp8 v[12:15], a[142:143], a[38:39], v[12:15]// 000000003FA4: D3F3000C 1C324D8E
	v_fma_f32 v148, v8, v4, v148                               // 000000003FAC: D1CB0094 06520908
	v_fma_f32 v149, v9, v4, v149                               // 000000003FB4: D1CB0095 06560909
	v_fma_f32 v150, v10, v4, v150                              // 000000003FBC: D1CB0096 065A090A
	v_fma_f32 v151, v11, v4, v151                              // 000000003FC4: D1CB0097 065E090B
	v_mul_f32_dpp v6, v27, v42 row_newbcast:0 row_mask:0xf bank_mask:0xf// 000000003FCC: 0A0C54FA FF01501B
	v_mfma_f32_16x16x32_fp8_fp8 v[8:11], a[128:129], a[40:41], 0// 000000003FD4: D3F30008 1A025180
	v_mfma_f32_16x16x32_fp8_fp8 v[8:11], a[130:131], a[42:43], v[8:11]// 000000003FDC: D3F30008 1C225582
	v_mfma_f32_16x16x32_fp8_fp8 v[8:11], a[132:133], a[44:45], v[8:11]// 000000003FE4: D3F30008 1C225984
	v_mfma_f32_16x16x32_fp8_fp8 v[8:11], a[134:135], a[46:47], v[8:11]// 000000003FEC: D3F30008 1C225D86
	v_fma_f32 v176, v12, v4, v176                              // 000000003FF4: D1CB00B0 06C2090C
	v_fma_f32 v177, v13, v4, v177                              // 000000003FFC: D1CB00B1 06C6090D
	v_fma_f32 v178, v14, v4, v178                              // 000000004004: D1CB00B2 06CA090E
	v_fma_f32 v179, v15, v4, v179                              // 00000000400C: D1CB00B3 06CE090F
	v_mfma_f32_16x16x32_fp8_fp8 v[12:15], a[136:137], a[40:41], 0// 000000004014: D3F3000C 1A025188
	v_mfma_f32_16x16x32_fp8_fp8 v[12:15], a[138:139], a[42:43], v[12:15]// 00000000401C: D3F3000C 1C32558A
	v_mfma_f32_16x16x32_fp8_fp8 v[12:15], a[140:141], a[44:45], v[12:15]// 000000004024: D3F3000C 1C32598C
	v_mfma_f32_16x16x32_fp8_fp8 v[12:15], a[142:143], a[46:47], v[12:15]// 00000000402C: D3F3000C 1C325D8E
	v_fma_f32 v152, v8, v6, v152                               // 000000004034: D1CB0098 06620D08
	v_fma_f32 v153, v9, v6, v153                               // 00000000403C: D1CB0099 06660D09
	v_fma_f32 v154, v10, v6, v154                              // 000000004044: D1CB009A 066A0D0A
	v_fma_f32 v155, v11, v6, v155                              // 00000000404C: D1CB009B 066E0D0B
	v_mul_f32_dpp v4, v27, v43 row_newbcast:0 row_mask:0xf bank_mask:0xf// 000000004054: 0A0856FA FF01501B
	v_mfma_f32_16x16x32_fp8_fp8 v[8:11], a[128:129], a[48:49], 0// 00000000405C: D3F30008 1A026180
	s_add_u32 s60, 0x180, s80                                  // 000000004064: 803C50FF 00000180
	s_cmp_lt_u32 s60, s81                                      // 00000000406C: BF0A513C
	s_cselect_b32 s57, s57, 0                                  // 000000004070: 85398039
	s_cselect_b32 s3, s3, 0                                    // 000000004074: 85038003
	v_mfma_f32_16x16x32_fp8_fp8 v[8:11], a[130:131], a[50:51], v[8:11]// 000000004078: D3F30008 1C226582
	s_add_u32 s60, 0x100, s80                                  // 000000004080: 803C50FF 00000100
	s_cmp_lt_u32 s60, s81                                      // 000000004088: BF0A513C
	s_cselect_b32 s58, s58, 0                                  // 00000000408C: 853A803A
	v_mfma_f32_16x16x32_fp8_fp8 v[8:11], a[132:133], a[52:53], v[8:11]// 000000004090: D3F30008 1C226984
	s_add_u32 s60, 0x100, s80                                  // 000000004098: 803C50FF 00000100
	s_cmp_lt_u32 s60, s81                                      // 0000000040A0: BF0A513C
	s_cselect_b32 s83, s83, 0                                  // 0000000040A4: 85538053
	s_cselect_b32 s4, s4, 0                                    // 0000000040A8: 85048004
	v_mfma_f32_16x16x32_fp8_fp8 v[8:11], a[134:135], a[54:55], v[8:11]// 0000000040AC: D3F30008 1C226D86
	s_add_u32 s24, s58, s24                                    // 0000000040B4: 8018183A
	s_addc_u32 s25, 0, s25                                     // 0000000040B8: 82191980
	v_fma_f32 v180, v12, v6, v180                              // 0000000040BC: D1CB00B4 06D20D0C
	v_fma_f32 v181, v13, v6, v181                              // 0000000040C4: D1CB00B5 06D60D0D
	v_fma_f32 v182, v14, v6, v182                              // 0000000040CC: D1CB00B6 06DA0D0E
	v_fma_f32 v183, v15, v6, v183                              // 0000000040D4: D1CB00B7 06DE0D0F
	v_mfma_f32_16x16x32_fp8_fp8 v[12:15], a[136:137], a[48:49], 0// 0000000040DC: D3F3000C 1A026188
	s_add_u32 s20, s57, s20                                    // 0000000040E4: 80141439
	s_addc_u32 s21, 0, s21                                     // 0000000040E8: 82151580
	s_add_u32 s28, s3, s28                                     // 0000000040EC: 801C1C03
	s_addc_u32 s29, 0, s29                                     // 0000000040F0: 821D1D80
	v_mfma_f32_16x16x32_fp8_fp8 v[12:15], a[138:139], a[50:51], v[12:15]// 0000000040F4: D3F3000C 1C32658A
	s_add_u32 s84, s83, s84                                    // 0000000040FC: 80545453
	s_addc_u32 s85, 0, s85                                     // 000000004100: 82555580
	v_mfma_f32_16x16x32_fp8_fp8 v[12:15], a[140:141], a[52:53], v[12:15]// 000000004104: D3F3000C 1C32698C
	s_add_u32 s32, s4, s32                                     // 00000000410C: 80202004
	s_addc_u32 s33, 0, s33                                     // 000000004110: 82212180
	v_mfma_f32_16x16x32_fp8_fp8 v[12:15], a[142:143], a[54:55], v[12:15]// 000000004114: D3F3000C 1C326D8E
	v_fma_f32 v156, v8, v4, v156                               // 00000000411C: D1CB009C 06720908
	v_fma_f32 v157, v9, v4, v157                               // 000000004124: D1CB009D 06760909
	v_fma_f32 v158, v10, v4, v158                              // 00000000412C: D1CB009E 067A090A
	v_fma_f32 v159, v11, v4, v159                              // 000000004134: D1CB009F 067E090B
	v_fma_f32 v184, v12, v4, v184                              // 00000000413C: D1CB00B8 06E2090C
	v_fma_f32 v185, v13, v4, v185                              // 000000004144: D1CB00B9 06E6090D
	v_fma_f32 v186, v14, v4, v186                              // 00000000414C: D1CB00BA 06EA090E
	v_fma_f32 v187, v15, v4, v187                              // 000000004154: D1CB00BB 06EE090F
	s_addk_i32 s80, 0x80                                       // 00000000415C: B7500080
	s_cmp_lt_i32 s80, s81                                      // 000000004160: BF045150
	s_cbranch_scc0 label_1206                                  // 000000004164: BF840C2C
	s_waitcnt vmcnt(26) lgkmcnt(0)                             // 000000004168: BF8C407A
	v_mul_f32_dpp v4, v25, v44 row_newbcast:0 row_mask:0xf bank_mask:0xf// 00000000416C: 0A0858FA FF015019
	v_mfma_f32_16x16x32_fp8_fp8 v[8:11], a[144:145], a[56:57], 0// 000000004174: D3F30008 1A027190
	buffer_load_dword v26, v22, s[32:35], 0 offen              // 00000000417C: E0501000 80081A16
	v_mfma_f32_16x16x32_fp8_fp8 v[8:11], a[146:147], a[58:59], v[8:11]// 000000004184: D3F30008 1C227592
	buffer_load_dwordx4 a[128:131], v72, s[24:27], 0 offen     // 00000000418C: E05C1000 80868048
	v_mfma_f32_16x16x32_fp8_fp8 v[8:11], a[148:149], a[60:61], v[8:11]// 000000004194: D3F30008 1C227994
	v_mfma_f32_16x16x32_fp8_fp8 v[8:11], a[150:151], a[62:63], v[8:11]// 00000000419C: D3F30008 1C227D96
	v_mfma_f32_16x16x32_fp8_fp8 v[12:15], a[152:153], a[56:57], 0// 0000000041A4: D3F3000C 1A027198
	v_mfma_f32_16x16x32_fp8_fp8 v[12:15], a[154:155], a[58:59], v[12:15]// 0000000041AC: D3F3000C 1C32759A
	buffer_load_dwordx4 a[132:135], v72, s[24:27], 0 offen offset:1024// 0000000041B4: E05C1400 80868448
	v_mfma_f32_16x16x32_fp8_fp8 v[12:15], a[156:157], a[60:61], v[12:15]// 0000000041BC: D3F3000C 1C32799C
	v_mfma_f32_16x16x32_fp8_fp8 v[12:15], a[158:159], a[62:63], v[12:15]// 0000000041C4: D3F3000C 1C327D9E
	v_fma_f32 v76, v8, v4, v76                                 // 0000000041CC: D1CB004C 05320908
	v_fma_f32 v77, v9, v4, v77                                 // 0000000041D4: D1CB004D 05360909
	v_fma_f32 v78, v10, v4, v78                                // 0000000041DC: D1CB004E 053A090A
	v_fma_f32 v79, v11, v4, v79                                // 0000000041E4: D1CB004F 053E090B
	v_mul_f32_dpp v6, v25, v45 row_newbcast:0 row_mask:0xf bank_mask:0xf// 0000000041EC: 0A0C5AFA FF015019
	v_mfma_f32_16x16x32_fp8_fp8 v[8:11], a[144:145], a[64:65], 0// 0000000041F4: D3F30008 1A028190
	v_mfma_f32_16x16x32_fp8_fp8 v[8:11], a[146:147], a[66:67], v[8:11]// 0000000041FC: D3F30008 1C228592
	buffer_load_dwordx4 a[136:139], v73, s[24:27], 0 offen     // 000000004204: E05C1000 80868849
	v_mfma_f32_16x16x32_fp8_fp8 v[8:11], a[148:149], a[68:69], v[8:11]// 00000000420C: D3F30008 1C228994
	v_mfma_f32_16x16x32_fp8_fp8 v[8:11], a[150:151], a[70:71], v[8:11]// 000000004214: D3F30008 1C228D96
	v_fma_f32 v104, v12, v4, v104                              // 00000000421C: D1CB0068 05A2090C
	v_fma_f32 v105, v13, v4, v105                              // 000000004224: D1CB0069 05A6090D
	v_fma_f32 v106, v14, v4, v106                              // 00000000422C: D1CB006A 05AA090E
	v_fma_f32 v107, v15, v4, v107                              // 000000004234: D1CB006B 05AE090F
	v_mfma_f32_16x16x32_fp8_fp8 v[12:15], a[152:153], a[64:65], 0// 00000000423C: D3F3000C 1A028198
	v_mfma_f32_16x16x32_fp8_fp8 v[12:15], a[154:155], a[66:67], v[12:15]// 000000004244: D3F3000C 1C32859A
	buffer_load_dwordx4 a[140:143], v73, s[24:27], 0 offen offset:1024// 00000000424C: E05C1400 80868C49
	buffer_load_dword v58, s[20:23], 0 offen lds               // 000000004254: E0511000 8005003A
	s_add_u32 m0, 0x100, s48                                   // 00000000425C: 807C30FF 00000100
	v_mfma_f32_16x16x32_fp8_fp8 v[12:15], a[156:157], a[68:69], v[12:15]// 000000004264: D3F3000C 1C32899C
	v_mfma_f32_16x16x32_fp8_fp8 v[12:15], a[158:159], a[70:71], v[12:15]// 00000000426C: D3F3000C 1C328D9E
	buffer_load_dword v59, s[20:23], 0 offen lds               // 000000004274: E0511000 8005003B
	s_add_u32 m0, 0x200, s48                                   // 00000000427C: 807C30FF 00000200
	v_fma_f32 v80, v8, v6, v80                                 // 000000004284: D1CB0050 05420D08
	v_fma_f32 v81, v9, v6, v81                                 // 00000000428C: D1CB0051 05460D09
	v_fma_f32 v82, v10, v6, v82                                // 000000004294: D1CB0052 054A0D0A
	v_fma_f32 v83, v11, v6, v83                                // 00000000429C: D1CB0053 054E0D0B
	v_mul_f32_dpp v4, v25, v46 row_newbcast:0 row_mask:0xf bank_mask:0xf// 0000000042A4: 0A085CFA FF015019
	v_mfma_f32_16x16x32_fp8_fp8 v[8:11], a[144:145], a[72:73], 0// 0000000042AC: D3F30008 1A029190
	v_mfma_f32_16x16x32_fp8_fp8 v[8:11], a[146:147], a[74:75], v[8:11]// 0000000042B4: D3F30008 1C229592
	buffer_load_dword v60, s[20:23], 0 offen lds               // 0000000042BC: E0511000 8005003C
	s_add_u32 m0, 0x300, s48                                   // 0000000042C4: 807C30FF 00000300
	v_mfma_f32_16x16x32_fp8_fp8 v[8:11], a[148:149], a[76:77], v[8:11]// 0000000042CC: D3F30008 1C229994
	v_mfma_f32_16x16x32_fp8_fp8 v[8:11], a[150:151], a[78:79], v[8:11]// 0000000042D4: D3F30008 1C229D96
	buffer_load_dword v61, s[20:23], 0 offen lds               // 0000000042DC: E0511000 8005003D
	s_add_u32 m0, 0x400, s48                                   // 0000000042E4: 807C30FF 00000400
	v_fma_f32 v108, v12, v6, v108                              // 0000000042EC: D1CB006C 05B20D0C
	v_fma_f32 v109, v13, v6, v109                              // 0000000042F4: D1CB006D 05B60D0D
	v_fma_f32 v110, v14, v6, v110                              // 0000000042FC: D1CB006E 05BA0D0E
	v_fma_f32 v111, v15, v6, v111                              // 000000004304: D1CB006F 05BE0D0F
	v_mfma_f32_16x16x32_fp8_fp8 v[12:15], a[152:153], a[72:73], 0// 00000000430C: D3F3000C 1A029198
	v_mfma_f32_16x16x32_fp8_fp8 v[12:15], a[154:155], a[74:75], v[12:15]// 000000004314: D3F3000C 1C32959A
	buffer_load_dword v62, s[20:23], 0 offen lds               // 00000000431C: E0511000 8005003E
	s_add_u32 m0, 0x500, s48                                   // 000000004324: 807C30FF 00000500
	v_mfma_f32_16x16x32_fp8_fp8 v[12:15], a[156:157], a[76:77], v[12:15]// 00000000432C: D3F3000C 1C32999C
	v_mfma_f32_16x16x32_fp8_fp8 v[12:15], a[158:159], a[78:79], v[12:15]// 000000004334: D3F3000C 1C329D9E
	buffer_load_dword v63, s[20:23], 0 offen lds               // 00000000433C: E0511000 8005003F
	s_add_u32 m0, 0x600, s48                                   // 000000004344: 807C30FF 00000600
	v_fma_f32 v84, v8, v4, v84                                 // 00000000434C: D1CB0054 05520908
	v_fma_f32 v85, v9, v4, v85                                 // 000000004354: D1CB0055 05560909
	v_fma_f32 v86, v10, v4, v86                                // 00000000435C: D1CB0056 055A090A
	v_fma_f32 v87, v11, v4, v87                                // 000000004364: D1CB0057 055E090B
	v_mul_f32_dpp v6, v25, v47 row_newbcast:0 row_mask:0xf bank_mask:0xf// 00000000436C: 0A0C5EFA FF015019
	v_mfma_f32_16x16x32_fp8_fp8 v[8:11], a[144:145], a[80:81], 0// 000000004374: D3F30008 1A02A190
	v_mfma_f32_16x16x32_fp8_fp8 v[8:11], a[146:147], a[82:83], v[8:11]// 00000000437C: D3F30008 1C22A592
	buffer_load_dword v64, s[20:23], 0 offen lds               // 000000004384: E0511000 80050040
	s_add_u32 m0, 0x700, s48                                   // 00000000438C: 807C30FF 00000700
	v_mfma_f32_16x16x32_fp8_fp8 v[8:11], a[148:149], a[84:85], v[8:11]// 000000004394: D3F30008 1C22A994
	v_mfma_f32_16x16x32_fp8_fp8 v[8:11], a[150:151], a[86:87], v[8:11]// 00000000439C: D3F30008 1C22AD96
	buffer_load_dword v65, s[20:23], 0 offen lds               // 0000000043A4: E0511000 80050041
	s_add_u32 m0, 0x800, s48                                   // 0000000043AC: 807C30FF 00000800
	v_fma_f32 v112, v12, v4, v112                              // 0000000043B4: D1CB0070 05C2090C
	v_fma_f32 v113, v13, v4, v113                              // 0000000043BC: D1CB0071 05C6090D
	v_fma_f32 v114, v14, v4, v114                              // 0000000043C4: D1CB0072 05CA090E
	v_fma_f32 v115, v15, v4, v115                              // 0000000043CC: D1CB0073 05CE090F
	v_mfma_f32_16x16x32_fp8_fp8 v[12:15], a[152:153], a[80:81], 0// 0000000043D4: D3F3000C 1A02A198
	v_mfma_f32_16x16x32_fp8_fp8 v[12:15], a[154:155], a[82:83], v[12:15]// 0000000043DC: D3F3000C 1C32A59A
	buffer_load_dword v66, s[20:23], 0 offen lds               // 0000000043E4: E0511000 80050042
	s_add_u32 m0, 0x900, s48                                   // 0000000043EC: 807C30FF 00000900
	v_mfma_f32_16x16x32_fp8_fp8 v[12:15], a[156:157], a[84:85], v[12:15]// 0000000043F4: D3F3000C 1C32A99C
	v_mfma_f32_16x16x32_fp8_fp8 v[12:15], a[158:159], a[86:87], v[12:15]// 0000000043FC: D3F3000C 1C32AD9E
	buffer_load_dword v67, s[20:23], 0 offen lds               // 000000004404: E0511000 80050043
	s_add_u32 m0, 0xa00, s48                                   // 00000000440C: 807C30FF 00000A00
	v_fma_f32 v88, v8, v6, v88                                 // 000000004414: D1CB0058 05620D08
	v_fma_f32 v89, v9, v6, v89                                 // 00000000441C: D1CB0059 05660D09
	v_fma_f32 v90, v10, v6, v90                                // 000000004424: D1CB005A 056A0D0A
	v_fma_f32 v91, v11, v6, v91                                // 00000000442C: D1CB005B 056E0D0B
	v_mul_f32_dpp v4, v25, v48 row_newbcast:0 row_mask:0xf bank_mask:0xf// 000000004434: 0A0860FA FF015019
	v_mfma_f32_16x16x32_fp8_fp8 v[8:11], a[144:145], a[88:89], 0// 00000000443C: D3F30008 1A02B190
	v_mfma_f32_16x16x32_fp8_fp8 v[8:11], a[146:147], a[90:91], v[8:11]// 000000004444: D3F30008 1C22B592
	buffer_load_dword v68, s[20:23], 0 offen lds               // 00000000444C: E0511000 80050044
	s_add_u32 m0, 0xb00, s48                                   // 000000004454: 807C30FF 00000B00
	v_mfma_f32_16x16x32_fp8_fp8 v[8:11], a[148:149], a[92:93], v[8:11]// 00000000445C: D3F30008 1C22B994
	v_mfma_f32_16x16x32_fp8_fp8 v[8:11], a[150:151], a[94:95], v[8:11]// 000000004464: D3F30008 1C22BD96
	buffer_load_dword v69, s[20:23], 0 offen lds               // 00000000446C: E0511000 80050045
	s_add_u32 m0, 0xc00, s48                                   // 000000004474: 807C30FF 00000C00
	v_fma_f32 v116, v12, v6, v116                              // 00000000447C: D1CB0074 05D20D0C
	v_fma_f32 v117, v13, v6, v117                              // 000000004484: D1CB0075 05D60D0D
	v_fma_f32 v118, v14, v6, v118                              // 00000000448C: D1CB0076 05DA0D0E
	v_fma_f32 v119, v15, v6, v119                              // 000000004494: D1CB0077 05DE0D0F
	v_mfma_f32_16x16x32_fp8_fp8 v[12:15], a[152:153], a[88:89], 0// 00000000449C: D3F3000C 1A02B198
	v_mfma_f32_16x16x32_fp8_fp8 v[12:15], a[154:155], a[90:91], v[12:15]// 0000000044A4: D3F3000C 1C32B59A
	buffer_load_dword v70, s[20:23], 0 offen lds               // 0000000044AC: E0511000 80050046
	s_add_u32 m0, 0xd00, s48                                   // 0000000044B4: 807C30FF 00000D00
	v_mfma_f32_16x16x32_fp8_fp8 v[12:15], a[156:157], a[92:93], v[12:15]// 0000000044BC: D3F3000C 1C32B99C
	v_mfma_f32_16x16x32_fp8_fp8 v[12:15], a[158:159], a[94:95], v[12:15]// 0000000044C4: D3F3000C 1C32BD9E
	buffer_load_dword v71, s[20:23], 0 offen lds               // 0000000044CC: E0511000 80050047
	s_add_u32 m0, 0, s49                                       // 0000000044D4: 807C3180
	v_fma_f32 v92, v8, v4, v92                                 // 0000000044D8: D1CB005C 05720908
	v_fma_f32 v93, v9, v4, v93                                 // 0000000044E0: D1CB005D 05760909
	v_fma_f32 v94, v10, v4, v94                                // 0000000044E8: D1CB005E 057A090A
	v_fma_f32 v95, v11, v4, v95                                // 0000000044F0: D1CB005F 057E090B
	v_mul_f32_dpp v6, v25, v49 row_newbcast:0 row_mask:0xf bank_mask:0xf// 0000000044F8: 0A0C62FA FF015019
	v_mfma_f32_16x16x32_fp8_fp8 v[8:11], a[144:145], a[96:97], 0// 000000004500: D3F30008 1A02C190
	v_mfma_f32_16x16x32_fp8_fp8 v[8:11], a[146:147], a[98:99], v[8:11]// 000000004508: D3F30008 1C22C592
	buffer_load_dword v37, v30, s[28:31], 0 offen              // 000000004510: E0501000 8007251E
	v_mfma_f32_16x16x32_fp8_fp8 v[8:11], a[148:149], a[100:101], v[8:11]// 000000004518: D3F30008 1C22C994
	v_mfma_f32_16x16x32_fp8_fp8 v[8:11], a[150:151], a[102:103], v[8:11]// 000000004520: D3F30008 1C22CD96
	buffer_load_dword v38, v31, s[28:31], 0 offen              // 000000004528: E0501000 8007261F
	v_fma_f32 v120, v12, v4, v120                              // 000000004530: D1CB0078 05E2090C
	v_fma_f32 v121, v13, v4, v121                              // 000000004538: D1CB0079 05E6090D
	v_fma_f32 v122, v14, v4, v122                              // 000000004540: D1CB007A 05EA090E
	v_fma_f32 v123, v15, v4, v123                              // 000000004548: D1CB007B 05EE090F
	v_mfma_f32_16x16x32_fp8_fp8 v[12:15], a[152:153], a[96:97], 0// 000000004550: D3F3000C 1A02C198
	v_mfma_f32_16x16x32_fp8_fp8 v[12:15], a[154:155], a[98:99], v[12:15]// 000000004558: D3F3000C 1C32C59A
	buffer_load_dword v39, v32, s[28:31], 0 offen              // 000000004560: E0501000 80072720
	v_mfma_f32_16x16x32_fp8_fp8 v[12:15], a[156:157], a[100:101], v[12:15]// 000000004568: D3F3000C 1C32C99C
	v_mfma_f32_16x16x32_fp8_fp8 v[12:15], a[158:159], a[102:103], v[12:15]// 000000004570: D3F3000C 1C32CD9E
	buffer_load_dword v40, v33, s[28:31], 0 offen              // 000000004578: E0501000 80072821
	v_fma_f32 v96, v8, v6, v96                                 // 000000004580: D1CB0060 05820D08
	v_fma_f32 v97, v9, v6, v97                                 // 000000004588: D1CB0061 05860D09
	v_fma_f32 v98, v10, v6, v98                                // 000000004590: D1CB0062 058A0D0A
	v_fma_f32 v99, v11, v6, v99                                // 000000004598: D1CB0063 058E0D0B
	v_mul_f32_dpp v4, v25, v50 row_newbcast:0 row_mask:0xf bank_mask:0xf// 0000000045A0: 0A0864FA FF015019
	v_mfma_f32_16x16x32_fp8_fp8 v[8:11], a[144:145], a[104:105], 0// 0000000045A8: D3F30008 1A02D190
	v_mfma_f32_16x16x32_fp8_fp8 v[8:11], a[146:147], a[106:107], v[8:11]// 0000000045B0: D3F30008 1C22D592
	buffer_load_dword v41, v34, s[28:31], 0 offen              // 0000000045B8: E0501000 80072922
	v_mfma_f32_16x16x32_fp8_fp8 v[8:11], a[148:149], a[108:109], v[8:11]// 0000000045C0: D3F30008 1C22D994
	v_mfma_f32_16x16x32_fp8_fp8 v[8:11], a[150:151], a[110:111], v[8:11]// 0000000045C8: D3F30008 1C22DD96
	buffer_load_dword v42, v35, s[28:31], 0 offen              // 0000000045D0: E0501000 80072A23
	v_fma_f32 v124, v12, v6, v124                              // 0000000045D8: D1CB007C 05F20D0C
	v_fma_f32 v125, v13, v6, v125                              // 0000000045E0: D1CB007D 05F60D0D
	v_fma_f32 v126, v14, v6, v126                              // 0000000045E8: D1CB007E 05FA0D0E
	v_fma_f32 v127, v15, v6, v127                              // 0000000045F0: D1CB007F 05FE0D0F
	v_mfma_f32_16x16x32_fp8_fp8 v[12:15], a[152:153], a[104:105], 0// 0000000045F8: D3F3000C 1A02D198
	v_mfma_f32_16x16x32_fp8_fp8 v[12:15], a[154:155], a[106:107], v[12:15]// 000000004600: D3F3000C 1C32D59A
	buffer_load_dword v43, v36, s[28:31], 0 offen              // 000000004608: E0501000 80072B24
	v_mfma_f32_16x16x32_fp8_fp8 v[12:15], a[156:157], a[108:109], v[12:15]// 000000004610: D3F3000C 1C32D99C
	v_mfma_f32_16x16x32_fp8_fp8 v[12:15], a[158:159], a[110:111], v[12:15]// 000000004618: D3F3000C 1C32DD9E
	v_fma_f32 v100, v8, v4, v100                               // 000000004620: D1CB0064 05920908
	v_fma_f32 v101, v9, v4, v101                               // 000000004628: D1CB0065 05960909
	v_fma_f32 v102, v10, v4, v102                              // 000000004630: D1CB0066 059A090A
	v_fma_f32 v103, v11, v4, v103                              // 000000004638: D1CB0067 059E090B
	v_fma_f32 v128, v12, v4, v128                              // 000000004640: D1CB0080 0602090C
	v_fma_f32 v129, v13, v4, v129                              // 000000004648: D1CB0081 0606090D
	v_fma_f32 v130, v14, v4, v130                              // 000000004650: D1CB0082 060A090E
	v_fma_f32 v131, v15, v4, v131                              // 000000004658: D1CB0083 060E090F
	s_waitcnt vmcnt(26)                                        // 000000004660: BF8C4F7A
	s_barrier                                                  // 000000004664: BF8A0000
	v_mul_f32_dpp v4, v28, v44 row_newbcast:0 row_mask:0xf bank_mask:0xf// 000000004668: 0A0858FA FF01501C
	v_mfma_f32_16x16x32_fp8_fp8 v[8:11], a[112:113], a[56:57], 0// 000000004670: D3F30008 1A027170
	buffer_load_dword v29, v23, s[32:35], 0 offen              // 000000004678: E0501000 80081D17
	v_mfma_f32_16x16x32_fp8_fp8 v[8:11], a[114:115], a[58:59], v[8:11]// 000000004680: D3F30008 1C227572
	buffer_load_dwordx4 a[144:147], v72, s[84:87], 0 offen     // 000000004688: E05C1000 80959048
	v_mfma_f32_16x16x32_fp8_fp8 v[8:11], a[116:117], a[60:61], v[8:11]// 000000004690: D3F30008 1C227974
	v_mfma_f32_16x16x32_fp8_fp8 v[8:11], a[118:119], a[62:63], v[8:11]// 000000004698: D3F30008 1C227D76
	ds_read_b128 a[0:3], v2 offset:28928                       // 0000000046A0: DBFE7100 00000002
	ds_read_b128 a[4:7], v2 offset:28992                       // 0000000046A8: DBFE7140 04000002
	v_mfma_f32_16x16x32_fp8_fp8 v[12:15], a[120:121], a[56:57], 0// 0000000046B0: D3F3000C 1A027178
	v_mfma_f32_16x16x32_fp8_fp8 v[12:15], a[122:123], a[58:59], v[12:15]// 0000000046B8: D3F3000C 1C32757A
	buffer_load_dwordx4 a[148:151], v72, s[84:87], 0 offen offset:1024// 0000000046C0: E05C1400 80959448
	v_mfma_f32_16x16x32_fp8_fp8 v[12:15], a[124:125], a[60:61], v[12:15]// 0000000046C8: D3F3000C 1C32797C
	v_mfma_f32_16x16x32_fp8_fp8 v[12:15], a[126:127], a[62:63], v[12:15]// 0000000046D0: D3F3000C 1C327D7E
	ds_read_b128 a[8:11], v2 offset:29440                      // 0000000046D8: DBFE7300 08000002
	ds_read_b128 a[12:15], v2 offset:29504                     // 0000000046E0: DBFE7340 0C000002
	v_fma_f32 v132, v8, v4, v132                               // 0000000046E8: D1CB0084 06120908
	v_fma_f32 v133, v9, v4, v133                               // 0000000046F0: D1CB0085 06160909
	v_fma_f32 v134, v10, v4, v134                              // 0000000046F8: D1CB0086 061A090A
	v_fma_f32 v135, v11, v4, v135                              // 000000004700: D1CB0087 061E090B
	v_mul_f32_dpp v6, v28, v45 row_newbcast:0 row_mask:0xf bank_mask:0xf// 000000004708: 0A0C5AFA FF01501C
	v_mfma_f32_16x16x32_fp8_fp8 v[8:11], a[112:113], a[64:65], 0// 000000004710: D3F30008 1A028170
	v_mfma_f32_16x16x32_fp8_fp8 v[8:11], a[114:115], a[66:67], v[8:11]// 000000004718: D3F30008 1C228572
	buffer_load_dwordx4 a[152:155], v73, s[84:87], 0 offen     // 000000004720: E05C1000 80959849
	v_mfma_f32_16x16x32_fp8_fp8 v[8:11], a[116:117], a[68:69], v[8:11]// 000000004728: D3F30008 1C228974
	v_mfma_f32_16x16x32_fp8_fp8 v[8:11], a[118:119], a[70:71], v[8:11]// 000000004730: D3F30008 1C228D76
	ds_read_b128 a[16:19], v2 offset:29952                     // 000000004738: DBFE7500 10000002
	ds_read_b128 a[20:23], v2 offset:30016                     // 000000004740: DBFE7540 14000002
	v_fma_f32 v160, v12, v4, v160                              // 000000004748: D1CB00A0 0682090C
	v_fma_f32 v161, v13, v4, v161                              // 000000004750: D1CB00A1 0686090D
	v_fma_f32 v162, v14, v4, v162                              // 000000004758: D1CB00A2 068A090E
	v_fma_f32 v163, v15, v4, v163                              // 000000004760: D1CB00A3 068E090F
	v_mfma_f32_16x16x32_fp8_fp8 v[12:15], a[120:121], a[64:65], 0// 000000004768: D3F3000C 1A028178
	v_mfma_f32_16x16x32_fp8_fp8 v[12:15], a[122:123], a[66:67], v[12:15]// 000000004770: D3F3000C 1C32857A
	buffer_load_dwordx4 a[156:159], v73, s[84:87], 0 offen offset:1024// 000000004778: E05C1400 80959C49
	v_mfma_f32_16x16x32_fp8_fp8 v[12:15], a[124:125], a[68:69], v[12:15]// 000000004780: D3F3000C 1C32897C
	v_mfma_f32_16x16x32_fp8_fp8 v[12:15], a[126:127], a[70:71], v[12:15]// 000000004788: D3F3000C 1C328D7E
	ds_read_b128 a[24:27], v2 offset:30464                     // 000000004790: DBFE7700 18000002
	ds_read_b128 a[28:31], v2 offset:30528                     // 000000004798: DBFE7740 1C000002
	v_fma_f32 v136, v8, v6, v136                               // 0000000047A0: D1CB0088 06220D08
	v_fma_f32 v137, v9, v6, v137                               // 0000000047A8: D1CB0089 06260D09
	v_fma_f32 v138, v10, v6, v138                              // 0000000047B0: D1CB008A 062A0D0A
	v_fma_f32 v139, v11, v6, v139                              // 0000000047B8: D1CB008B 062E0D0B
	v_mul_f32_dpp v4, v28, v46 row_newbcast:0 row_mask:0xf bank_mask:0xf// 0000000047C0: 0A085CFA FF01501C
	v_mfma_f32_16x16x32_fp8_fp8 v[8:11], a[112:113], a[72:73], 0// 0000000047C8: D3F30008 1A029170
	v_mfma_f32_16x16x32_fp8_fp8 v[8:11], a[114:115], a[74:75], v[8:11]// 0000000047D0: D3F30008 1C229572
	v_mfma_f32_16x16x32_fp8_fp8 v[8:11], a[116:117], a[76:77], v[8:11]// 0000000047D8: D3F30008 1C229974
	v_mfma_f32_16x16x32_fp8_fp8 v[8:11], a[118:119], a[78:79], v[8:11]// 0000000047E0: D3F30008 1C229D76
	ds_read_b128 a[32:35], v2 offset:30976                     // 0000000047E8: DBFE7900 20000002
	ds_read_b128 a[36:39], v2 offset:31040                     // 0000000047F0: DBFE7940 24000002
	v_fma_f32 v164, v12, v6, v164                              // 0000000047F8: D1CB00A4 06920D0C
	v_fma_f32 v165, v13, v6, v165                              // 000000004800: D1CB00A5 06960D0D
	v_fma_f32 v166, v14, v6, v166                              // 000000004808: D1CB00A6 069A0D0E
	v_fma_f32 v167, v15, v6, v167                              // 000000004810: D1CB00A7 069E0D0F
	v_mfma_f32_16x16x32_fp8_fp8 v[12:15], a[120:121], a[72:73], 0// 000000004818: D3F3000C 1A029178
	v_mfma_f32_16x16x32_fp8_fp8 v[12:15], a[122:123], a[74:75], v[12:15]// 000000004820: D3F3000C 1C32957A
	v_mfma_f32_16x16x32_fp8_fp8 v[12:15], a[124:125], a[76:77], v[12:15]// 000000004828: D3F3000C 1C32997C
	v_mfma_f32_16x16x32_fp8_fp8 v[12:15], a[126:127], a[78:79], v[12:15]// 000000004830: D3F3000C 1C329D7E
	ds_read_b128 a[40:43], v2 offset:31488                     // 000000004838: DBFE7B00 28000002
	ds_read_b128 a[44:47], v2 offset:31552                     // 000000004840: DBFE7B40 2C000002
	v_fma_f32 v140, v8, v4, v140                               // 000000004848: D1CB008C 06320908
	v_fma_f32 v141, v9, v4, v141                               // 000000004850: D1CB008D 06360909
	v_fma_f32 v142, v10, v4, v142                              // 000000004858: D1CB008E 063A090A
	v_fma_f32 v143, v11, v4, v143                              // 000000004860: D1CB008F 063E090B
	v_mul_f32_dpp v6, v28, v47 row_newbcast:0 row_mask:0xf bank_mask:0xf// 000000004868: 0A0C5EFA FF01501C
	v_mfma_f32_16x16x32_fp8_fp8 v[8:11], a[112:113], a[80:81], 0// 000000004870: D3F30008 1A02A170
	v_mfma_f32_16x16x32_fp8_fp8 v[8:11], a[114:115], a[82:83], v[8:11]// 000000004878: D3F30008 1C22A572
	v_mfma_f32_16x16x32_fp8_fp8 v[8:11], a[116:117], a[84:85], v[8:11]// 000000004880: D3F30008 1C22A974
	v_mfma_f32_16x16x32_fp8_fp8 v[8:11], a[118:119], a[86:87], v[8:11]// 000000004888: D3F30008 1C22AD76
	ds_read_b128 a[48:51], v2 offset:32000                     // 000000004890: DBFE7D00 30000002
	ds_read_b128 a[52:55], v2 offset:32064                     // 000000004898: DBFE7D40 34000002
	v_fma_f32 v168, v12, v4, v168                              // 0000000048A0: D1CB00A8 06A2090C
	v_fma_f32 v169, v13, v4, v169                              // 0000000048A8: D1CB00A9 06A6090D
	v_fma_f32 v170, v14, v4, v170                              // 0000000048B0: D1CB00AA 06AA090E
	v_fma_f32 v171, v15, v4, v171                              // 0000000048B8: D1CB00AB 06AE090F
	v_mfma_f32_16x16x32_fp8_fp8 v[12:15], a[120:121], a[80:81], 0// 0000000048C0: D3F3000C 1A02A178
	v_mfma_f32_16x16x32_fp8_fp8 v[12:15], a[122:123], a[82:83], v[12:15]// 0000000048C8: D3F3000C 1C32A57A
	v_mfma_f32_16x16x32_fp8_fp8 v[12:15], a[124:125], a[84:85], v[12:15]// 0000000048D0: D3F3000C 1C32A97C
	v_mfma_f32_16x16x32_fp8_fp8 v[12:15], a[126:127], a[86:87], v[12:15]// 0000000048D8: D3F3000C 1C32AD7E
	v_fma_f32 v144, v8, v6, v144                               // 0000000048E0: D1CB0090 06420D08
	v_fma_f32 v145, v9, v6, v145                               // 0000000048E8: D1CB0091 06460D09
	v_fma_f32 v146, v10, v6, v146                              // 0000000048F0: D1CB0092 064A0D0A
	v_fma_f32 v147, v11, v6, v147                              // 0000000048F8: D1CB0093 064E0D0B
	v_mul_f32_dpp v4, v28, v48 row_newbcast:0 row_mask:0xf bank_mask:0xf// 000000004900: 0A0860FA FF01501C
	v_mfma_f32_16x16x32_fp8_fp8 v[8:11], a[112:113], a[88:89], 0// 000000004908: D3F30008 1A02B170
	v_mfma_f32_16x16x32_fp8_fp8 v[8:11], a[114:115], a[90:91], v[8:11]// 000000004910: D3F30008 1C22B572
	v_mfma_f32_16x16x32_fp8_fp8 v[8:11], a[116:117], a[92:93], v[8:11]// 000000004918: D3F30008 1C22B974
	v_mfma_f32_16x16x32_fp8_fp8 v[8:11], a[118:119], a[94:95], v[8:11]// 000000004920: D3F30008 1C22BD76
	v_fma_f32 v172, v12, v6, v172                              // 000000004928: D1CB00AC 06B20D0C
	v_fma_f32 v173, v13, v6, v173                              // 000000004930: D1CB00AD 06B60D0D
	v_fma_f32 v174, v14, v6, v174                              // 000000004938: D1CB00AE 06BA0D0E
	v_fma_f32 v175, v15, v6, v175                              // 000000004940: D1CB00AF 06BE0D0F
	v_mfma_f32_16x16x32_fp8_fp8 v[12:15], a[120:121], a[88:89], 0// 000000004948: D3F3000C 1A02B178
	v_mfma_f32_16x16x32_fp8_fp8 v[12:15], a[122:123], a[90:91], v[12:15]// 000000004950: D3F3000C 1C32B57A
	v_mfma_f32_16x16x32_fp8_fp8 v[12:15], a[124:125], a[92:93], v[12:15]// 000000004958: D3F3000C 1C32B97C
	v_mfma_f32_16x16x32_fp8_fp8 v[12:15], a[126:127], a[94:95], v[12:15]// 000000004960: D3F3000C 1C32BD7E
	v_fma_f32 v148, v8, v4, v148                               // 000000004968: D1CB0094 06520908
	v_fma_f32 v149, v9, v4, v149                               // 000000004970: D1CB0095 06560909
	v_fma_f32 v150, v10, v4, v150                              // 000000004978: D1CB0096 065A090A
	v_fma_f32 v151, v11, v4, v151                              // 000000004980: D1CB0097 065E090B
	v_mul_f32_dpp v6, v28, v49 row_newbcast:0 row_mask:0xf bank_mask:0xf// 000000004988: 0A0C62FA FF01501C
	v_mfma_f32_16x16x32_fp8_fp8 v[8:11], a[112:113], a[96:97], 0// 000000004990: D3F30008 1A02C170
	v_mfma_f32_16x16x32_fp8_fp8 v[8:11], a[114:115], a[98:99], v[8:11]// 000000004998: D3F30008 1C22C572
	v_mfma_f32_16x16x32_fp8_fp8 v[8:11], a[116:117], a[100:101], v[8:11]// 0000000049A0: D3F30008 1C22C974
	v_mfma_f32_16x16x32_fp8_fp8 v[8:11], a[118:119], a[102:103], v[8:11]// 0000000049A8: D3F30008 1C22CD76
	v_fma_f32 v176, v12, v4, v176                              // 0000000049B0: D1CB00B0 06C2090C
	v_fma_f32 v177, v13, v4, v177                              // 0000000049B8: D1CB00B1 06C6090D
	v_fma_f32 v178, v14, v4, v178                              // 0000000049C0: D1CB00B2 06CA090E
	v_fma_f32 v179, v15, v4, v179                              // 0000000049C8: D1CB00B3 06CE090F
	v_mfma_f32_16x16x32_fp8_fp8 v[12:15], a[120:121], a[96:97], 0// 0000000049D0: D3F3000C 1A02C178
	v_mfma_f32_16x16x32_fp8_fp8 v[12:15], a[122:123], a[98:99], v[12:15]// 0000000049D8: D3F3000C 1C32C57A
	v_mfma_f32_16x16x32_fp8_fp8 v[12:15], a[124:125], a[100:101], v[12:15]// 0000000049E0: D3F3000C 1C32C97C
	v_mfma_f32_16x16x32_fp8_fp8 v[12:15], a[126:127], a[102:103], v[12:15]// 0000000049E8: D3F3000C 1C32CD7E
	v_fma_f32 v152, v8, v6, v152                               // 0000000049F0: D1CB0098 06620D08
	v_fma_f32 v153, v9, v6, v153                               // 0000000049F8: D1CB0099 06660D09
	v_fma_f32 v154, v10, v6, v154                              // 000000004A00: D1CB009A 066A0D0A
	v_fma_f32 v155, v11, v6, v155                              // 000000004A08: D1CB009B 066E0D0B
	v_mul_f32_dpp v4, v28, v50 row_newbcast:0 row_mask:0xf bank_mask:0xf// 000000004A10: 0A0864FA FF01501C
	v_mfma_f32_16x16x32_fp8_fp8 v[8:11], a[112:113], a[104:105], 0// 000000004A18: D3F30008 1A02D170
	s_add_u32 s60, 0x180, s80                                  // 000000004A20: 803C50FF 00000180
	s_cmp_lt_u32 s60, s81                                      // 000000004A28: BF0A513C
	s_cselect_b32 s57, s57, 0                                  // 000000004A2C: 85398039
	s_cselect_b32 s3, s3, 0                                    // 000000004A30: 85038003
	v_mfma_f32_16x16x32_fp8_fp8 v[8:11], a[114:115], a[106:107], v[8:11]// 000000004A34: D3F30008 1C22D572
	s_add_u32 s60, 0x100, s80                                  // 000000004A3C: 803C50FF 00000100
	s_cmp_lt_u32 s60, s81                                      // 000000004A44: BF0A513C
	s_cselect_b32 s58, s58, 0                                  // 000000004A48: 853A803A
	v_mfma_f32_16x16x32_fp8_fp8 v[8:11], a[116:117], a[108:109], v[8:11]// 000000004A4C: D3F30008 1C22D974
	s_add_u32 s60, 0x100, s80                                  // 000000004A54: 803C50FF 00000100
	s_cmp_lt_u32 s60, s81                                      // 000000004A5C: BF0A513C
	s_cselect_b32 s83, s83, 0                                  // 000000004A60: 85538053
	s_cselect_b32 s4, s4, 0                                    // 000000004A64: 85048004
	v_mfma_f32_16x16x32_fp8_fp8 v[8:11], a[118:119], a[110:111], v[8:11]// 000000004A68: D3F30008 1C22DD76
	s_add_u32 s24, s58, s24                                    // 000000004A70: 8018183A
	s_addc_u32 s25, 0, s25                                     // 000000004A74: 82191980
	v_fma_f32 v180, v12, v6, v180                              // 000000004A78: D1CB00B4 06D20D0C
	v_fma_f32 v181, v13, v6, v181                              // 000000004A80: D1CB00B5 06D60D0D
	v_fma_f32 v182, v14, v6, v182                              // 000000004A88: D1CB00B6 06DA0D0E
	v_fma_f32 v183, v15, v6, v183                              // 000000004A90: D1CB00B7 06DE0D0F
	v_mfma_f32_16x16x32_fp8_fp8 v[12:15], a[120:121], a[104:105], 0// 000000004A98: D3F3000C 1A02D178
	s_add_u32 s20, s57, s20                                    // 000000004AA0: 80141439
	s_addc_u32 s21, 0, s21                                     // 000000004AA4: 82151580
	s_add_u32 s28, s3, s28                                     // 000000004AA8: 801C1C03
	s_addc_u32 s29, 0, s29                                     // 000000004AAC: 821D1D80
	v_mfma_f32_16x16x32_fp8_fp8 v[12:15], a[122:123], a[106:107], v[12:15]// 000000004AB0: D3F3000C 1C32D57A
	s_add_u32 s84, s83, s84                                    // 000000004AB8: 80545453
	s_addc_u32 s85, 0, s85                                     // 000000004ABC: 82555580
	v_mfma_f32_16x16x32_fp8_fp8 v[12:15], a[124:125], a[108:109], v[12:15]// 000000004AC0: D3F3000C 1C32D97C
	s_add_u32 s32, s4, s32                                     // 000000004AC8: 80202004
	s_addc_u32 s33, 0, s33                                     // 000000004ACC: 82212180
	v_mfma_f32_16x16x32_fp8_fp8 v[12:15], a[126:127], a[110:111], v[12:15]// 000000004AD0: D3F3000C 1C32DD7E
	v_fma_f32 v156, v8, v4, v156                               // 000000004AD8: D1CB009C 06720908
	v_fma_f32 v157, v9, v4, v157                               // 000000004AE0: D1CB009D 06760909
	v_fma_f32 v158, v10, v4, v158                              // 000000004AE8: D1CB009E 067A090A
	v_fma_f32 v159, v11, v4, v159                              // 000000004AF0: D1CB009F 067E090B
	v_fma_f32 v184, v12, v4, v184                              // 000000004AF8: D1CB00B8 06E2090C
	v_fma_f32 v185, v13, v4, v185                              // 000000004B00: D1CB00B9 06E6090D
	v_fma_f32 v186, v14, v4, v186                              // 000000004B08: D1CB00BA 06EA090E
	v_fma_f32 v187, v15, v4, v187                              // 000000004B10: D1CB00BB 06EE090F
	s_addk_i32 s80, 0x80                                       // 000000004B18: B7500080
	s_cmp_lt_i32 s80, s81                                      // 000000004B1C: BF045150
	s_cbranch_scc0 label_1206                                  // 000000004B20: BF8409BD
	s_waitcnt vmcnt(26) lgkmcnt(0)                             // 000000004B24: BF8C407A
	v_mul_f32_dpp v4, v26, v51 row_newbcast:0 row_mask:0xf bank_mask:0xf// 000000004B28: 0A0866FA FF01501A
	v_mfma_f32_16x16x32_fp8_fp8 v[8:11], a[128:129], a[0:1], 0 // 000000004B30: D3F30008 1A020180
	buffer_load_dword v24, v22, s[32:35], 0 offen              // 000000004B38: E0501000 80081816
	v_mfma_f32_16x16x32_fp8_fp8 v[8:11], a[130:131], a[2:3], v[8:11]// 000000004B40: D3F30008 1C220582
	buffer_load_dwordx4 a[112:115], v72, s[24:27], 0 offen     // 000000004B48: E05C1000 80867048
	v_mfma_f32_16x16x32_fp8_fp8 v[8:11], a[132:133], a[4:5], v[8:11]// 000000004B50: D3F30008 1C220984
	v_mfma_f32_16x16x32_fp8_fp8 v[8:11], a[134:135], a[6:7], v[8:11]// 000000004B58: D3F30008 1C220D86
	v_mfma_f32_16x16x32_fp8_fp8 v[12:15], a[136:137], a[0:1], 0// 000000004B60: D3F3000C 1A020188
	v_mfma_f32_16x16x32_fp8_fp8 v[12:15], a[138:139], a[2:3], v[12:15]// 000000004B68: D3F3000C 1C32058A
	buffer_load_dwordx4 a[116:119], v72, s[24:27], 0 offen offset:1024// 000000004B70: E05C1400 80867448
	v_mfma_f32_16x16x32_fp8_fp8 v[12:15], a[140:141], a[4:5], v[12:15]// 000000004B78: D3F3000C 1C32098C
	v_mfma_f32_16x16x32_fp8_fp8 v[12:15], a[142:143], a[6:7], v[12:15]// 000000004B80: D3F3000C 1C320D8E
	v_fma_f32 v76, v8, v4, v76                                 // 000000004B88: D1CB004C 05320908
	v_fma_f32 v77, v9, v4, v77                                 // 000000004B90: D1CB004D 05360909
	v_fma_f32 v78, v10, v4, v78                                // 000000004B98: D1CB004E 053A090A
	v_fma_f32 v79, v11, v4, v79                                // 000000004BA0: D1CB004F 053E090B
	v_mul_f32_dpp v6, v26, v52 row_newbcast:0 row_mask:0xf bank_mask:0xf// 000000004BA8: 0A0C68FA FF01501A
	v_mfma_f32_16x16x32_fp8_fp8 v[8:11], a[128:129], a[8:9], 0 // 000000004BB0: D3F30008 1A021180
	v_mfma_f32_16x16x32_fp8_fp8 v[8:11], a[130:131], a[10:11], v[8:11]// 000000004BB8: D3F30008 1C221582
	buffer_load_dwordx4 a[120:123], v73, s[24:27], 0 offen     // 000000004BC0: E05C1000 80867849
	v_mfma_f32_16x16x32_fp8_fp8 v[8:11], a[132:133], a[12:13], v[8:11]// 000000004BC8: D3F30008 1C221984
	v_mfma_f32_16x16x32_fp8_fp8 v[8:11], a[134:135], a[14:15], v[8:11]// 000000004BD0: D3F30008 1C221D86
	v_fma_f32 v104, v12, v4, v104                              // 000000004BD8: D1CB0068 05A2090C
	v_fma_f32 v105, v13, v4, v105                              // 000000004BE0: D1CB0069 05A6090D
	v_fma_f32 v106, v14, v4, v106                              // 000000004BE8: D1CB006A 05AA090E
	v_fma_f32 v107, v15, v4, v107                              // 000000004BF0: D1CB006B 05AE090F
	v_mfma_f32_16x16x32_fp8_fp8 v[12:15], a[136:137], a[8:9], 0// 000000004BF8: D3F3000C 1A021188
	v_mfma_f32_16x16x32_fp8_fp8 v[12:15], a[138:139], a[10:11], v[12:15]// 000000004C00: D3F3000C 1C32158A
	buffer_load_dwordx4 a[124:127], v73, s[24:27], 0 offen offset:1024// 000000004C08: E05C1400 80867C49
	buffer_load_dword v58, s[20:23], 0 offen lds               // 000000004C10: E0511000 8005003A
	s_add_u32 m0, 0x100, s49                                   // 000000004C18: 807C31FF 00000100
	v_mfma_f32_16x16x32_fp8_fp8 v[12:15], a[140:141], a[12:13], v[12:15]// 000000004C20: D3F3000C 1C32198C
	v_mfma_f32_16x16x32_fp8_fp8 v[12:15], a[142:143], a[14:15], v[12:15]// 000000004C28: D3F3000C 1C321D8E
	buffer_load_dword v59, s[20:23], 0 offen lds               // 000000004C30: E0511000 8005003B
	s_add_u32 m0, 0x200, s49                                   // 000000004C38: 807C31FF 00000200
	v_fma_f32 v80, v8, v6, v80                                 // 000000004C40: D1CB0050 05420D08
	v_fma_f32 v81, v9, v6, v81                                 // 000000004C48: D1CB0051 05460D09
	v_fma_f32 v82, v10, v6, v82                                // 000000004C50: D1CB0052 054A0D0A
	v_fma_f32 v83, v11, v6, v83                                // 000000004C58: D1CB0053 054E0D0B
	v_mul_f32_dpp v4, v26, v53 row_newbcast:0 row_mask:0xf bank_mask:0xf// 000000004C60: 0A086AFA FF01501A
	v_mfma_f32_16x16x32_fp8_fp8 v[8:11], a[128:129], a[16:17], 0// 000000004C68: D3F30008 1A022180
	v_mfma_f32_16x16x32_fp8_fp8 v[8:11], a[130:131], a[18:19], v[8:11]// 000000004C70: D3F30008 1C222582
	buffer_load_dword v60, s[20:23], 0 offen lds               // 000000004C78: E0511000 8005003C
	s_add_u32 m0, 0x300, s49                                   // 000000004C80: 807C31FF 00000300
	v_mfma_f32_16x16x32_fp8_fp8 v[8:11], a[132:133], a[20:21], v[8:11]// 000000004C88: D3F30008 1C222984
	v_mfma_f32_16x16x32_fp8_fp8 v[8:11], a[134:135], a[22:23], v[8:11]// 000000004C90: D3F30008 1C222D86
	buffer_load_dword v61, s[20:23], 0 offen lds               // 000000004C98: E0511000 8005003D
	s_add_u32 m0, 0x400, s49                                   // 000000004CA0: 807C31FF 00000400
	v_fma_f32 v108, v12, v6, v108                              // 000000004CA8: D1CB006C 05B20D0C
	v_fma_f32 v109, v13, v6, v109                              // 000000004CB0: D1CB006D 05B60D0D
	v_fma_f32 v110, v14, v6, v110                              // 000000004CB8: D1CB006E 05BA0D0E
	v_fma_f32 v111, v15, v6, v111                              // 000000004CC0: D1CB006F 05BE0D0F
	v_mfma_f32_16x16x32_fp8_fp8 v[12:15], a[136:137], a[16:17], 0// 000000004CC8: D3F3000C 1A022188
	v_mfma_f32_16x16x32_fp8_fp8 v[12:15], a[138:139], a[18:19], v[12:15]// 000000004CD0: D3F3000C 1C32258A
	buffer_load_dword v62, s[20:23], 0 offen lds               // 000000004CD8: E0511000 8005003E
	s_add_u32 m0, 0x500, s49                                   // 000000004CE0: 807C31FF 00000500
	v_mfma_f32_16x16x32_fp8_fp8 v[12:15], a[140:141], a[20:21], v[12:15]// 000000004CE8: D3F3000C 1C32298C
	v_mfma_f32_16x16x32_fp8_fp8 v[12:15], a[142:143], a[22:23], v[12:15]// 000000004CF0: D3F3000C 1C322D8E
	buffer_load_dword v63, s[20:23], 0 offen lds               // 000000004CF8: E0511000 8005003F
	s_add_u32 m0, 0x600, s49                                   // 000000004D00: 807C31FF 00000600
	v_fma_f32 v84, v8, v4, v84                                 // 000000004D08: D1CB0054 05520908
	v_fma_f32 v85, v9, v4, v85                                 // 000000004D10: D1CB0055 05560909
	v_fma_f32 v86, v10, v4, v86                                // 000000004D18: D1CB0056 055A090A
	v_fma_f32 v87, v11, v4, v87                                // 000000004D20: D1CB0057 055E090B
	v_mul_f32_dpp v6, v26, v54 row_newbcast:0 row_mask:0xf bank_mask:0xf// 000000004D28: 0A0C6CFA FF01501A
	v_mfma_f32_16x16x32_fp8_fp8 v[8:11], a[128:129], a[24:25], 0// 000000004D30: D3F30008 1A023180
	v_mfma_f32_16x16x32_fp8_fp8 v[8:11], a[130:131], a[26:27], v[8:11]// 000000004D38: D3F30008 1C223582
	buffer_load_dword v64, s[20:23], 0 offen lds               // 000000004D40: E0511000 80050040
	s_add_u32 m0, 0x700, s49                                   // 000000004D48: 807C31FF 00000700
	v_mfma_f32_16x16x32_fp8_fp8 v[8:11], a[132:133], a[28:29], v[8:11]// 000000004D50: D3F30008 1C223984
	v_mfma_f32_16x16x32_fp8_fp8 v[8:11], a[134:135], a[30:31], v[8:11]// 000000004D58: D3F30008 1C223D86
	buffer_load_dword v65, s[20:23], 0 offen lds               // 000000004D60: E0511000 80050041
	s_add_u32 m0, 0x800, s49                                   // 000000004D68: 807C31FF 00000800
	v_fma_f32 v112, v12, v4, v112                              // 000000004D70: D1CB0070 05C2090C
	v_fma_f32 v113, v13, v4, v113                              // 000000004D78: D1CB0071 05C6090D
	v_fma_f32 v114, v14, v4, v114                              // 000000004D80: D1CB0072 05CA090E
	v_fma_f32 v115, v15, v4, v115                              // 000000004D88: D1CB0073 05CE090F
	v_mfma_f32_16x16x32_fp8_fp8 v[12:15], a[136:137], a[24:25], 0// 000000004D90: D3F3000C 1A023188
	v_mfma_f32_16x16x32_fp8_fp8 v[12:15], a[138:139], a[26:27], v[12:15]// 000000004D98: D3F3000C 1C32358A
	buffer_load_dword v66, s[20:23], 0 offen lds               // 000000004DA0: E0511000 80050042
	s_add_u32 m0, 0x900, s49                                   // 000000004DA8: 807C31FF 00000900
	v_mfma_f32_16x16x32_fp8_fp8 v[12:15], a[140:141], a[28:29], v[12:15]// 000000004DB0: D3F3000C 1C32398C
	v_mfma_f32_16x16x32_fp8_fp8 v[12:15], a[142:143], a[30:31], v[12:15]// 000000004DB8: D3F3000C 1C323D8E
	buffer_load_dword v67, s[20:23], 0 offen lds               // 000000004DC0: E0511000 80050043
	s_add_u32 m0, 0xa00, s49                                   // 000000004DC8: 807C31FF 00000A00
	v_fma_f32 v88, v8, v6, v88                                 // 000000004DD0: D1CB0058 05620D08
	v_fma_f32 v89, v9, v6, v89                                 // 000000004DD8: D1CB0059 05660D09
	v_fma_f32 v90, v10, v6, v90                                // 000000004DE0: D1CB005A 056A0D0A
	v_fma_f32 v91, v11, v6, v91                                // 000000004DE8: D1CB005B 056E0D0B
	v_mul_f32_dpp v4, v26, v55 row_newbcast:0 row_mask:0xf bank_mask:0xf// 000000004DF0: 0A086EFA FF01501A
	v_mfma_f32_16x16x32_fp8_fp8 v[8:11], a[128:129], a[32:33], 0// 000000004DF8: D3F30008 1A024180
	v_mfma_f32_16x16x32_fp8_fp8 v[8:11], a[130:131], a[34:35], v[8:11]// 000000004E00: D3F30008 1C224582
	buffer_load_dword v68, s[20:23], 0 offen lds               // 000000004E08: E0511000 80050044
	s_add_u32 m0, 0xb00, s49                                   // 000000004E10: 807C31FF 00000B00
	v_mfma_f32_16x16x32_fp8_fp8 v[8:11], a[132:133], a[36:37], v[8:11]// 000000004E18: D3F30008 1C224984
	v_mfma_f32_16x16x32_fp8_fp8 v[8:11], a[134:135], a[38:39], v[8:11]// 000000004E20: D3F30008 1C224D86
	buffer_load_dword v69, s[20:23], 0 offen lds               // 000000004E28: E0511000 80050045
	s_add_u32 m0, 0xc00, s49                                   // 000000004E30: 807C31FF 00000C00
	v_fma_f32 v116, v12, v6, v116                              // 000000004E38: D1CB0074 05D20D0C
	v_fma_f32 v117, v13, v6, v117                              // 000000004E40: D1CB0075 05D60D0D
	v_fma_f32 v118, v14, v6, v118                              // 000000004E48: D1CB0076 05DA0D0E
	v_fma_f32 v119, v15, v6, v119                              // 000000004E50: D1CB0077 05DE0D0F
	v_mfma_f32_16x16x32_fp8_fp8 v[12:15], a[136:137], a[32:33], 0// 000000004E58: D3F3000C 1A024188
	v_mfma_f32_16x16x32_fp8_fp8 v[12:15], a[138:139], a[34:35], v[12:15]// 000000004E60: D3F3000C 1C32458A
	buffer_load_dword v70, s[20:23], 0 offen lds               // 000000004E68: E0511000 80050046
	s_add_u32 m0, 0xd00, s49                                   // 000000004E70: 807C31FF 00000D00
	v_mfma_f32_16x16x32_fp8_fp8 v[12:15], a[140:141], a[36:37], v[12:15]// 000000004E78: D3F3000C 1C32498C
	v_mfma_f32_16x16x32_fp8_fp8 v[12:15], a[142:143], a[38:39], v[12:15]// 000000004E80: D3F3000C 1C324D8E
	buffer_load_dword v71, s[20:23], 0 offen lds               // 000000004E88: E0511000 80050047
	s_add_u32 m0, 0, s50                                       // 000000004E90: 807C3280
	v_fma_f32 v92, v8, v4, v92                                 // 000000004E94: D1CB005C 05720908
	v_fma_f32 v93, v9, v4, v93                                 // 000000004E9C: D1CB005D 05760909
	v_fma_f32 v94, v10, v4, v94                                // 000000004EA4: D1CB005E 057A090A
	v_fma_f32 v95, v11, v4, v95                                // 000000004EAC: D1CB005F 057E090B
	v_mul_f32_dpp v6, v26, v56 row_newbcast:0 row_mask:0xf bank_mask:0xf// 000000004EB4: 0A0C70FA FF01501A
	v_mfma_f32_16x16x32_fp8_fp8 v[8:11], a[128:129], a[40:41], 0// 000000004EBC: D3F30008 1A025180
	v_mfma_f32_16x16x32_fp8_fp8 v[8:11], a[130:131], a[42:43], v[8:11]// 000000004EC4: D3F30008 1C225582
	buffer_load_dword v44, v30, s[28:31], 0 offen              // 000000004ECC: E0501000 80072C1E
	v_mfma_f32_16x16x32_fp8_fp8 v[8:11], a[132:133], a[44:45], v[8:11]// 000000004ED4: D3F30008 1C225984
	v_mfma_f32_16x16x32_fp8_fp8 v[8:11], a[134:135], a[46:47], v[8:11]// 000000004EDC: D3F30008 1C225D86
	buffer_load_dword v45, v31, s[28:31], 0 offen              // 000000004EE4: E0501000 80072D1F
	v_fma_f32 v120, v12, v4, v120                              // 000000004EEC: D1CB0078 05E2090C
	v_fma_f32 v121, v13, v4, v121                              // 000000004EF4: D1CB0079 05E6090D
	v_fma_f32 v122, v14, v4, v122                              // 000000004EFC: D1CB007A 05EA090E
	v_fma_f32 v123, v15, v4, v123                              // 000000004F04: D1CB007B 05EE090F
	v_mfma_f32_16x16x32_fp8_fp8 v[12:15], a[136:137], a[40:41], 0// 000000004F0C: D3F3000C 1A025188
	v_mfma_f32_16x16x32_fp8_fp8 v[12:15], a[138:139], a[42:43], v[12:15]// 000000004F14: D3F3000C 1C32558A
	buffer_load_dword v46, v32, s[28:31], 0 offen              // 000000004F1C: E0501000 80072E20
	v_mfma_f32_16x16x32_fp8_fp8 v[12:15], a[140:141], a[44:45], v[12:15]// 000000004F24: D3F3000C 1C32598C
	v_mfma_f32_16x16x32_fp8_fp8 v[12:15], a[142:143], a[46:47], v[12:15]// 000000004F2C: D3F3000C 1C325D8E
	buffer_load_dword v47, v33, s[28:31], 0 offen              // 000000004F34: E0501000 80072F21
	v_fma_f32 v96, v8, v6, v96                                 // 000000004F3C: D1CB0060 05820D08
	v_fma_f32 v97, v9, v6, v97                                 // 000000004F44: D1CB0061 05860D09
	v_fma_f32 v98, v10, v6, v98                                // 000000004F4C: D1CB0062 058A0D0A
	v_fma_f32 v99, v11, v6, v99                                // 000000004F54: D1CB0063 058E0D0B
	v_mul_f32_dpp v4, v26, v57 row_newbcast:0 row_mask:0xf bank_mask:0xf// 000000004F5C: 0A0872FA FF01501A
	v_mfma_f32_16x16x32_fp8_fp8 v[8:11], a[128:129], a[48:49], 0// 000000004F64: D3F30008 1A026180
	v_mfma_f32_16x16x32_fp8_fp8 v[8:11], a[130:131], a[50:51], v[8:11]// 000000004F6C: D3F30008 1C226582
	buffer_load_dword v48, v34, s[28:31], 0 offen              // 000000004F74: E0501000 80073022
	v_mfma_f32_16x16x32_fp8_fp8 v[8:11], a[132:133], a[52:53], v[8:11]// 000000004F7C: D3F30008 1C226984
	v_mfma_f32_16x16x32_fp8_fp8 v[8:11], a[134:135], a[54:55], v[8:11]// 000000004F84: D3F30008 1C226D86
	buffer_load_dword v49, v35, s[28:31], 0 offen              // 000000004F8C: E0501000 80073123
	v_fma_f32 v124, v12, v6, v124                              // 000000004F94: D1CB007C 05F20D0C
	v_fma_f32 v125, v13, v6, v125                              // 000000004F9C: D1CB007D 05F60D0D
	v_fma_f32 v126, v14, v6, v126                              // 000000004FA4: D1CB007E 05FA0D0E
	v_fma_f32 v127, v15, v6, v127                              // 000000004FAC: D1CB007F 05FE0D0F
	v_mfma_f32_16x16x32_fp8_fp8 v[12:15], a[136:137], a[48:49], 0// 000000004FB4: D3F3000C 1A026188
	v_mfma_f32_16x16x32_fp8_fp8 v[12:15], a[138:139], a[50:51], v[12:15]// 000000004FBC: D3F3000C 1C32658A
	buffer_load_dword v50, v36, s[28:31], 0 offen              // 000000004FC4: E0501000 80073224
	v_mfma_f32_16x16x32_fp8_fp8 v[12:15], a[140:141], a[52:53], v[12:15]// 000000004FCC: D3F3000C 1C32698C
	v_mfma_f32_16x16x32_fp8_fp8 v[12:15], a[142:143], a[54:55], v[12:15]// 000000004FD4: D3F3000C 1C326D8E
	v_fma_f32 v100, v8, v4, v100                               // 000000004FDC: D1CB0064 05920908
	v_fma_f32 v101, v9, v4, v101                               // 000000004FE4: D1CB0065 05960909
	v_fma_f32 v102, v10, v4, v102                              // 000000004FEC: D1CB0066 059A090A
	v_fma_f32 v103, v11, v4, v103                              // 000000004FF4: D1CB0067 059E090B
	v_fma_f32 v128, v12, v4, v128                              // 000000004FFC: D1CB0080 0602090C
	v_fma_f32 v129, v13, v4, v129                              // 000000005004: D1CB0081 0606090D
	v_fma_f32 v130, v14, v4, v130                              // 00000000500C: D1CB0082 060A090E
	v_fma_f32 v131, v15, v4, v131                              // 000000005014: D1CB0083 060E090F
	s_waitcnt vmcnt(26)                                        // 00000000501C: BF8C4F7A
	s_barrier                                                  // 000000005020: BF8A0000
	v_mul_f32_dpp v4, v29, v51 row_newbcast:0 row_mask:0xf bank_mask:0xf// 000000005024: 0A0866FA FF01501D
	v_mfma_f32_16x16x32_fp8_fp8 v[8:11], a[144:145], a[0:1], 0 // 00000000502C: D3F30008 1A020190
	buffer_load_dword v27, v23, s[32:35], 0 offen              // 000000005034: E0501000 80081B17
	v_mfma_f32_16x16x32_fp8_fp8 v[8:11], a[146:147], a[2:3], v[8:11]// 00000000503C: D3F30008 1C220592
	buffer_load_dwordx4 a[128:131], v72, s[84:87], 0 offen     // 000000005044: E05C1000 80958048
	v_mfma_f32_16x16x32_fp8_fp8 v[8:11], a[148:149], a[4:5], v[8:11]// 00000000504C: D3F30008 1C220994
	v_mfma_f32_16x16x32_fp8_fp8 v[8:11], a[150:151], a[6:7], v[8:11]// 000000005054: D3F30008 1C220D96
	ds_read_b128 a[56:59], v2                                  // 00000000505C: DBFE0000 38000002
	ds_read_b128 a[60:63], v2 offset:64                        // 000000005064: DBFE0040 3C000002
	v_mfma_f32_16x16x32_fp8_fp8 v[12:15], a[152:153], a[0:1], 0// 00000000506C: D3F3000C 1A020198
	v_mfma_f32_16x16x32_fp8_fp8 v[12:15], a[154:155], a[2:3], v[12:15]// 000000005074: D3F3000C 1C32059A
	buffer_load_dwordx4 a[132:135], v72, s[84:87], 0 offen offset:1024// 00000000507C: E05C1400 80958448
	v_mfma_f32_16x16x32_fp8_fp8 v[12:15], a[156:157], a[4:5], v[12:15]// 000000005084: D3F3000C 1C32099C
	v_mfma_f32_16x16x32_fp8_fp8 v[12:15], a[158:159], a[6:7], v[12:15]// 00000000508C: D3F3000C 1C320D9E
	ds_read_b128 a[64:67], v2 offset:512                       // 000000005094: DBFE0200 40000002
	ds_read_b128 a[68:71], v2 offset:576                       // 00000000509C: DBFE0240 44000002
	v_fma_f32 v132, v8, v4, v132                               // 0000000050A4: D1CB0084 06120908
	v_fma_f32 v133, v9, v4, v133                               // 0000000050AC: D1CB0085 06160909
	v_fma_f32 v134, v10, v4, v134                              // 0000000050B4: D1CB0086 061A090A
	v_fma_f32 v135, v11, v4, v135                              // 0000000050BC: D1CB0087 061E090B
	v_mul_f32_dpp v6, v29, v52 row_newbcast:0 row_mask:0xf bank_mask:0xf// 0000000050C4: 0A0C68FA FF01501D
	v_mfma_f32_16x16x32_fp8_fp8 v[8:11], a[144:145], a[8:9], 0 // 0000000050CC: D3F30008 1A021190
	v_mfma_f32_16x16x32_fp8_fp8 v[8:11], a[146:147], a[10:11], v[8:11]// 0000000050D4: D3F30008 1C221592
	buffer_load_dwordx4 a[136:139], v73, s[84:87], 0 offen     // 0000000050DC: E05C1000 80958849
	v_mfma_f32_16x16x32_fp8_fp8 v[8:11], a[148:149], a[12:13], v[8:11]// 0000000050E4: D3F30008 1C221994
	v_mfma_f32_16x16x32_fp8_fp8 v[8:11], a[150:151], a[14:15], v[8:11]// 0000000050EC: D3F30008 1C221D96
	ds_read_b128 a[72:75], v2 offset:1024                      // 0000000050F4: DBFE0400 48000002
	ds_read_b128 a[76:79], v2 offset:1088                      // 0000000050FC: DBFE0440 4C000002
	v_fma_f32 v160, v12, v4, v160                              // 000000005104: D1CB00A0 0682090C
	v_fma_f32 v161, v13, v4, v161                              // 00000000510C: D1CB00A1 0686090D
	v_fma_f32 v162, v14, v4, v162                              // 000000005114: D1CB00A2 068A090E
	v_fma_f32 v163, v15, v4, v163                              // 00000000511C: D1CB00A3 068E090F
	v_mfma_f32_16x16x32_fp8_fp8 v[12:15], a[152:153], a[8:9], 0// 000000005124: D3F3000C 1A021198
	v_mfma_f32_16x16x32_fp8_fp8 v[12:15], a[154:155], a[10:11], v[12:15]// 00000000512C: D3F3000C 1C32159A
	buffer_load_dwordx4 a[140:143], v73, s[84:87], 0 offen offset:1024// 000000005134: E05C1400 80958C49
	v_mfma_f32_16x16x32_fp8_fp8 v[12:15], a[156:157], a[12:13], v[12:15]// 00000000513C: D3F3000C 1C32199C
	v_mfma_f32_16x16x32_fp8_fp8 v[12:15], a[158:159], a[14:15], v[12:15]// 000000005144: D3F3000C 1C321D9E
	ds_read_b128 a[80:83], v2 offset:1536                      // 00000000514C: DBFE0600 50000002
	ds_read_b128 a[84:87], v2 offset:1600                      // 000000005154: DBFE0640 54000002
	v_fma_f32 v136, v8, v6, v136                               // 00000000515C: D1CB0088 06220D08
	v_fma_f32 v137, v9, v6, v137                               // 000000005164: D1CB0089 06260D09
	v_fma_f32 v138, v10, v6, v138                              // 00000000516C: D1CB008A 062A0D0A
	v_fma_f32 v139, v11, v6, v139                              // 000000005174: D1CB008B 062E0D0B
	v_mul_f32_dpp v4, v29, v53 row_newbcast:0 row_mask:0xf bank_mask:0xf// 00000000517C: 0A086AFA FF01501D
	v_mfma_f32_16x16x32_fp8_fp8 v[8:11], a[144:145], a[16:17], 0// 000000005184: D3F30008 1A022190
	v_mfma_f32_16x16x32_fp8_fp8 v[8:11], a[146:147], a[18:19], v[8:11]// 00000000518C: D3F30008 1C222592
	v_mfma_f32_16x16x32_fp8_fp8 v[8:11], a[148:149], a[20:21], v[8:11]// 000000005194: D3F30008 1C222994
	v_mfma_f32_16x16x32_fp8_fp8 v[8:11], a[150:151], a[22:23], v[8:11]// 00000000519C: D3F30008 1C222D96
	ds_read_b128 a[88:91], v2 offset:2048                      // 0000000051A4: DBFE0800 58000002
	ds_read_b128 a[92:95], v2 offset:2112                      // 0000000051AC: DBFE0840 5C000002
	v_fma_f32 v164, v12, v6, v164                              // 0000000051B4: D1CB00A4 06920D0C
	v_fma_f32 v165, v13, v6, v165                              // 0000000051BC: D1CB00A5 06960D0D
	v_fma_f32 v166, v14, v6, v166                              // 0000000051C4: D1CB00A6 069A0D0E
	v_fma_f32 v167, v15, v6, v167                              // 0000000051CC: D1CB00A7 069E0D0F
	v_mfma_f32_16x16x32_fp8_fp8 v[12:15], a[152:153], a[16:17], 0// 0000000051D4: D3F3000C 1A022198
	v_mfma_f32_16x16x32_fp8_fp8 v[12:15], a[154:155], a[18:19], v[12:15]// 0000000051DC: D3F3000C 1C32259A
	v_mfma_f32_16x16x32_fp8_fp8 v[12:15], a[156:157], a[20:21], v[12:15]// 0000000051E4: D3F3000C 1C32299C
	v_mfma_f32_16x16x32_fp8_fp8 v[12:15], a[158:159], a[22:23], v[12:15]// 0000000051EC: D3F3000C 1C322D9E
	ds_read_b128 a[96:99], v2 offset:2560                      // 0000000051F4: DBFE0A00 60000002
	ds_read_b128 a[100:103], v2 offset:2624                    // 0000000051FC: DBFE0A40 64000002
	v_fma_f32 v140, v8, v4, v140                               // 000000005204: D1CB008C 06320908
	v_fma_f32 v141, v9, v4, v141                               // 00000000520C: D1CB008D 06360909
	v_fma_f32 v142, v10, v4, v142                              // 000000005214: D1CB008E 063A090A
	v_fma_f32 v143, v11, v4, v143                              // 00000000521C: D1CB008F 063E090B
	v_mul_f32_dpp v6, v29, v54 row_newbcast:0 row_mask:0xf bank_mask:0xf// 000000005224: 0A0C6CFA FF01501D
	v_mfma_f32_16x16x32_fp8_fp8 v[8:11], a[144:145], a[24:25], 0// 00000000522C: D3F30008 1A023190
	v_mfma_f32_16x16x32_fp8_fp8 v[8:11], a[146:147], a[26:27], v[8:11]// 000000005234: D3F30008 1C223592
	v_mfma_f32_16x16x32_fp8_fp8 v[8:11], a[148:149], a[28:29], v[8:11]// 00000000523C: D3F30008 1C223994
	v_mfma_f32_16x16x32_fp8_fp8 v[8:11], a[150:151], a[30:31], v[8:11]// 000000005244: D3F30008 1C223D96
	ds_read_b128 a[104:107], v2 offset:3072                    // 00000000524C: DBFE0C00 68000002
	ds_read_b128 a[108:111], v2 offset:3136                    // 000000005254: DBFE0C40 6C000002
	v_fma_f32 v168, v12, v4, v168                              // 00000000525C: D1CB00A8 06A2090C
	v_fma_f32 v169, v13, v4, v169                              // 000000005264: D1CB00A9 06A6090D
	v_fma_f32 v170, v14, v4, v170                              // 00000000526C: D1CB00AA 06AA090E
	v_fma_f32 v171, v15, v4, v171                              // 000000005274: D1CB00AB 06AE090F
	v_mfma_f32_16x16x32_fp8_fp8 v[12:15], a[152:153], a[24:25], 0// 00000000527C: D3F3000C 1A023198
	v_mfma_f32_16x16x32_fp8_fp8 v[12:15], a[154:155], a[26:27], v[12:15]// 000000005284: D3F3000C 1C32359A
	v_mfma_f32_16x16x32_fp8_fp8 v[12:15], a[156:157], a[28:29], v[12:15]// 00000000528C: D3F3000C 1C32399C
	v_mfma_f32_16x16x32_fp8_fp8 v[12:15], a[158:159], a[30:31], v[12:15]// 000000005294: D3F3000C 1C323D9E
	v_fma_f32 v144, v8, v6, v144                               // 00000000529C: D1CB0090 06420D08
	v_fma_f32 v145, v9, v6, v145                               // 0000000052A4: D1CB0091 06460D09
	v_fma_f32 v146, v10, v6, v146                              // 0000000052AC: D1CB0092 064A0D0A
	v_fma_f32 v147, v11, v6, v147                              // 0000000052B4: D1CB0093 064E0D0B
	v_mul_f32_dpp v4, v29, v55 row_newbcast:0 row_mask:0xf bank_mask:0xf// 0000000052BC: 0A086EFA FF01501D
	v_mfma_f32_16x16x32_fp8_fp8 v[8:11], a[144:145], a[32:33], 0// 0000000052C4: D3F30008 1A024190
	v_mfma_f32_16x16x32_fp8_fp8 v[8:11], a[146:147], a[34:35], v[8:11]// 0000000052CC: D3F30008 1C224592
	v_mfma_f32_16x16x32_fp8_fp8 v[8:11], a[148:149], a[36:37], v[8:11]// 0000000052D4: D3F30008 1C224994
	v_mfma_f32_16x16x32_fp8_fp8 v[8:11], a[150:151], a[38:39], v[8:11]// 0000000052DC: D3F30008 1C224D96
	v_fma_f32 v172, v12, v6, v172                              // 0000000052E4: D1CB00AC 06B20D0C
	v_fma_f32 v173, v13, v6, v173                              // 0000000052EC: D1CB00AD 06B60D0D
	v_fma_f32 v174, v14, v6, v174                              // 0000000052F4: D1CB00AE 06BA0D0E
	v_fma_f32 v175, v15, v6, v175                              // 0000000052FC: D1CB00AF 06BE0D0F
	v_mfma_f32_16x16x32_fp8_fp8 v[12:15], a[152:153], a[32:33], 0// 000000005304: D3F3000C 1A024198
	v_mfma_f32_16x16x32_fp8_fp8 v[12:15], a[154:155], a[34:35], v[12:15]// 00000000530C: D3F3000C 1C32459A
	v_mfma_f32_16x16x32_fp8_fp8 v[12:15], a[156:157], a[36:37], v[12:15]// 000000005314: D3F3000C 1C32499C
	v_mfma_f32_16x16x32_fp8_fp8 v[12:15], a[158:159], a[38:39], v[12:15]// 00000000531C: D3F3000C 1C324D9E
	v_fma_f32 v148, v8, v4, v148                               // 000000005324: D1CB0094 06520908
	v_fma_f32 v149, v9, v4, v149                               // 00000000532C: D1CB0095 06560909
	v_fma_f32 v150, v10, v4, v150                              // 000000005334: D1CB0096 065A090A
	v_fma_f32 v151, v11, v4, v151                              // 00000000533C: D1CB0097 065E090B
	v_mul_f32_dpp v6, v29, v56 row_newbcast:0 row_mask:0xf bank_mask:0xf// 000000005344: 0A0C70FA FF01501D
	v_mfma_f32_16x16x32_fp8_fp8 v[8:11], a[144:145], a[40:41], 0// 00000000534C: D3F30008 1A025190
	v_mfma_f32_16x16x32_fp8_fp8 v[8:11], a[146:147], a[42:43], v[8:11]// 000000005354: D3F30008 1C225592
	v_mfma_f32_16x16x32_fp8_fp8 v[8:11], a[148:149], a[44:45], v[8:11]// 00000000535C: D3F30008 1C225994
	v_mfma_f32_16x16x32_fp8_fp8 v[8:11], a[150:151], a[46:47], v[8:11]// 000000005364: D3F30008 1C225D96
	v_fma_f32 v176, v12, v4, v176                              // 00000000536C: D1CB00B0 06C2090C
	v_fma_f32 v177, v13, v4, v177                              // 000000005374: D1CB00B1 06C6090D
	v_fma_f32 v178, v14, v4, v178                              // 00000000537C: D1CB00B2 06CA090E
	v_fma_f32 v179, v15, v4, v179                              // 000000005384: D1CB00B3 06CE090F
	v_mfma_f32_16x16x32_fp8_fp8 v[12:15], a[152:153], a[40:41], 0// 00000000538C: D3F3000C 1A025198
	v_mfma_f32_16x16x32_fp8_fp8 v[12:15], a[154:155], a[42:43], v[12:15]// 000000005394: D3F3000C 1C32559A
	v_mfma_f32_16x16x32_fp8_fp8 v[12:15], a[156:157], a[44:45], v[12:15]// 00000000539C: D3F3000C 1C32599C
	v_mfma_f32_16x16x32_fp8_fp8 v[12:15], a[158:159], a[46:47], v[12:15]// 0000000053A4: D3F3000C 1C325D9E
	v_fma_f32 v152, v8, v6, v152                               // 0000000053AC: D1CB0098 06620D08
	v_fma_f32 v153, v9, v6, v153                               // 0000000053B4: D1CB0099 06660D09
	v_fma_f32 v154, v10, v6, v154                              // 0000000053BC: D1CB009A 066A0D0A
	v_fma_f32 v155, v11, v6, v155                              // 0000000053C4: D1CB009B 066E0D0B
	v_mul_f32_dpp v4, v29, v57 row_newbcast:0 row_mask:0xf bank_mask:0xf// 0000000053CC: 0A0872FA FF01501D
	v_mfma_f32_16x16x32_fp8_fp8 v[8:11], a[144:145], a[48:49], 0// 0000000053D4: D3F30008 1A026190
	s_add_u32 s60, 0x180, s80                                  // 0000000053DC: 803C50FF 00000180
	s_cmp_lt_u32 s60, s81                                      // 0000000053E4: BF0A513C
	s_cselect_b32 s57, s57, 0                                  // 0000000053E8: 85398039
	s_cselect_b32 s3, s3, 0                                    // 0000000053EC: 85038003
	v_mfma_f32_16x16x32_fp8_fp8 v[8:11], a[146:147], a[50:51], v[8:11]// 0000000053F0: D3F30008 1C226592
	s_add_u32 s60, 0x100, s80                                  // 0000000053F8: 803C50FF 00000100
	s_cmp_lt_u32 s60, s81                                      // 000000005400: BF0A513C
	s_cselect_b32 s58, s58, 0                                  // 000000005404: 853A803A
	v_mfma_f32_16x16x32_fp8_fp8 v[8:11], a[148:149], a[52:53], v[8:11]// 000000005408: D3F30008 1C226994
	s_add_u32 s60, 0x100, s80                                  // 000000005410: 803C50FF 00000100
	s_cmp_lt_u32 s60, s81                                      // 000000005418: BF0A513C
	s_cselect_b32 s83, s83, 0                                  // 00000000541C: 85538053
	s_cselect_b32 s4, s4, 0                                    // 000000005420: 85048004
	v_mfma_f32_16x16x32_fp8_fp8 v[8:11], a[150:151], a[54:55], v[8:11]// 000000005424: D3F30008 1C226D96
	s_add_u32 s24, s58, s24                                    // 00000000542C: 8018183A
	s_addc_u32 s25, 0, s25                                     // 000000005430: 82191980
	v_fma_f32 v180, v12, v6, v180                              // 000000005434: D1CB00B4 06D20D0C
	v_fma_f32 v181, v13, v6, v181                              // 00000000543C: D1CB00B5 06D60D0D
	v_fma_f32 v182, v14, v6, v182                              // 000000005444: D1CB00B6 06DA0D0E
	v_fma_f32 v183, v15, v6, v183                              // 00000000544C: D1CB00B7 06DE0D0F
	v_mfma_f32_16x16x32_fp8_fp8 v[12:15], a[152:153], a[48:49], 0// 000000005454: D3F3000C 1A026198
	s_add_u32 s20, s57, s20                                    // 00000000545C: 80141439
	s_addc_u32 s21, 0, s21                                     // 000000005460: 82151580
	s_add_u32 s28, s3, s28                                     // 000000005464: 801C1C03
	s_addc_u32 s29, 0, s29                                     // 000000005468: 821D1D80
	v_mfma_f32_16x16x32_fp8_fp8 v[12:15], a[154:155], a[50:51], v[12:15]// 00000000546C: D3F3000C 1C32659A
	s_add_u32 s84, s83, s84                                    // 000000005474: 80545453
	s_addc_u32 s85, 0, s85                                     // 000000005478: 82555580
	v_mfma_f32_16x16x32_fp8_fp8 v[12:15], a[156:157], a[52:53], v[12:15]// 00000000547C: D3F3000C 1C32699C
	s_add_u32 s32, s4, s32                                     // 000000005484: 80202004
	s_addc_u32 s33, 0, s33                                     // 000000005488: 82212180
	v_mfma_f32_16x16x32_fp8_fp8 v[12:15], a[158:159], a[54:55], v[12:15]// 00000000548C: D3F3000C 1C326D9E
	v_fma_f32 v156, v8, v4, v156                               // 000000005494: D1CB009C 06720908
	v_fma_f32 v157, v9, v4, v157                               // 00000000549C: D1CB009D 06760909
	v_fma_f32 v158, v10, v4, v158                              // 0000000054A4: D1CB009E 067A090A
	v_fma_f32 v159, v11, v4, v159                              // 0000000054AC: D1CB009F 067E090B
	v_fma_f32 v184, v12, v4, v184                              // 0000000054B4: D1CB00B8 06E2090C
	v_fma_f32 v185, v13, v4, v185                              // 0000000054BC: D1CB00B9 06E6090D
	v_fma_f32 v186, v14, v4, v186                              // 0000000054C4: D1CB00BA 06EA090E
	v_fma_f32 v187, v15, v4, v187                              // 0000000054CC: D1CB00BB 06EE090F
	s_addk_i32 s80, 0x80                                       // 0000000054D4: B7500080
	s_cmp_lt_i32 s80, s81                                      // 0000000054D8: BF045150
	s_cbranch_scc0 label_1206                                  // 0000000054DC: BF84074E
	s_waitcnt vmcnt(26) lgkmcnt(0)                             // 0000000054E0: BF8C407A
	v_mul_f32_dpp v4, v24, v37 row_newbcast:0 row_mask:0xf bank_mask:0xf// 0000000054E4: 0A084AFA FF015018
	v_mfma_f32_16x16x32_fp8_fp8 v[8:11], a[112:113], a[56:57], 0// 0000000054EC: D3F30008 1A027170
	buffer_load_dword v25, v22, s[32:35], 0 offen              // 0000000054F4: E0501000 80081916
	v_mfma_f32_16x16x32_fp8_fp8 v[8:11], a[114:115], a[58:59], v[8:11]// 0000000054FC: D3F30008 1C227572
	buffer_load_dwordx4 a[144:147], v72, s[24:27], 0 offen     // 000000005504: E05C1000 80869048
	v_mfma_f32_16x16x32_fp8_fp8 v[8:11], a[116:117], a[60:61], v[8:11]// 00000000550C: D3F30008 1C227974
	v_mfma_f32_16x16x32_fp8_fp8 v[8:11], a[118:119], a[62:63], v[8:11]// 000000005514: D3F30008 1C227D76
	v_mfma_f32_16x16x32_fp8_fp8 v[12:15], a[120:121], a[56:57], 0// 00000000551C: D3F3000C 1A027178
	v_mfma_f32_16x16x32_fp8_fp8 v[12:15], a[122:123], a[58:59], v[12:15]// 000000005524: D3F3000C 1C32757A
	buffer_load_dwordx4 a[148:151], v72, s[24:27], 0 offen offset:1024// 00000000552C: E05C1400 80869448
	v_mfma_f32_16x16x32_fp8_fp8 v[12:15], a[124:125], a[60:61], v[12:15]// 000000005534: D3F3000C 1C32797C
	v_mfma_f32_16x16x32_fp8_fp8 v[12:15], a[126:127], a[62:63], v[12:15]// 00000000553C: D3F3000C 1C327D7E
	v_fma_f32 v76, v8, v4, v76                                 // 000000005544: D1CB004C 05320908
	v_fma_f32 v77, v9, v4, v77                                 // 00000000554C: D1CB004D 05360909
	v_fma_f32 v78, v10, v4, v78                                // 000000005554: D1CB004E 053A090A
	v_fma_f32 v79, v11, v4, v79                                // 00000000555C: D1CB004F 053E090B
	v_mul_f32_dpp v6, v24, v38 row_newbcast:0 row_mask:0xf bank_mask:0xf// 000000005564: 0A0C4CFA FF015018
	v_mfma_f32_16x16x32_fp8_fp8 v[8:11], a[112:113], a[64:65], 0// 00000000556C: D3F30008 1A028170
	v_mfma_f32_16x16x32_fp8_fp8 v[8:11], a[114:115], a[66:67], v[8:11]// 000000005574: D3F30008 1C228572
	buffer_load_dwordx4 a[152:155], v73, s[24:27], 0 offen     // 00000000557C: E05C1000 80869849
	v_mfma_f32_16x16x32_fp8_fp8 v[8:11], a[116:117], a[68:69], v[8:11]// 000000005584: D3F30008 1C228974
	v_mfma_f32_16x16x32_fp8_fp8 v[8:11], a[118:119], a[70:71], v[8:11]// 00000000558C: D3F30008 1C228D76
	v_fma_f32 v104, v12, v4, v104                              // 000000005594: D1CB0068 05A2090C
	v_fma_f32 v105, v13, v4, v105                              // 00000000559C: D1CB0069 05A6090D
	v_fma_f32 v106, v14, v4, v106                              // 0000000055A4: D1CB006A 05AA090E
	v_fma_f32 v107, v15, v4, v107                              // 0000000055AC: D1CB006B 05AE090F
	v_mfma_f32_16x16x32_fp8_fp8 v[12:15], a[120:121], a[64:65], 0// 0000000055B4: D3F3000C 1A028178
	v_mfma_f32_16x16x32_fp8_fp8 v[12:15], a[122:123], a[66:67], v[12:15]// 0000000055BC: D3F3000C 1C32857A
	buffer_load_dwordx4 a[156:159], v73, s[24:27], 0 offen offset:1024// 0000000055C4: E05C1400 80869C49
	buffer_load_dword v58, s[20:23], 0 offen lds               // 0000000055CC: E0511000 8005003A
	s_add_u32 m0, 0x100, s50                                   // 0000000055D4: 807C32FF 00000100
	v_mfma_f32_16x16x32_fp8_fp8 v[12:15], a[124:125], a[68:69], v[12:15]// 0000000055DC: D3F3000C 1C32897C
	v_mfma_f32_16x16x32_fp8_fp8 v[12:15], a[126:127], a[70:71], v[12:15]// 0000000055E4: D3F3000C 1C328D7E
	buffer_load_dword v59, s[20:23], 0 offen lds               // 0000000055EC: E0511000 8005003B
	s_add_u32 m0, 0x200, s50                                   // 0000000055F4: 807C32FF 00000200
	v_fma_f32 v80, v8, v6, v80                                 // 0000000055FC: D1CB0050 05420D08
	v_fma_f32 v81, v9, v6, v81                                 // 000000005604: D1CB0051 05460D09
	v_fma_f32 v82, v10, v6, v82                                // 00000000560C: D1CB0052 054A0D0A
	v_fma_f32 v83, v11, v6, v83                                // 000000005614: D1CB0053 054E0D0B
	v_mul_f32_dpp v4, v24, v39 row_newbcast:0 row_mask:0xf bank_mask:0xf// 00000000561C: 0A084EFA FF015018
	v_mfma_f32_16x16x32_fp8_fp8 v[8:11], a[112:113], a[72:73], 0// 000000005624: D3F30008 1A029170
	v_mfma_f32_16x16x32_fp8_fp8 v[8:11], a[114:115], a[74:75], v[8:11]// 00000000562C: D3F30008 1C229572
	buffer_load_dword v60, s[20:23], 0 offen lds               // 000000005634: E0511000 8005003C
	s_add_u32 m0, 0x300, s50                                   // 00000000563C: 807C32FF 00000300
	v_mfma_f32_16x16x32_fp8_fp8 v[8:11], a[116:117], a[76:77], v[8:11]// 000000005644: D3F30008 1C229974
	v_mfma_f32_16x16x32_fp8_fp8 v[8:11], a[118:119], a[78:79], v[8:11]// 00000000564C: D3F30008 1C229D76
	buffer_load_dword v61, s[20:23], 0 offen lds               // 000000005654: E0511000 8005003D
	s_add_u32 m0, 0x400, s50                                   // 00000000565C: 807C32FF 00000400
	v_fma_f32 v108, v12, v6, v108                              // 000000005664: D1CB006C 05B20D0C
	v_fma_f32 v109, v13, v6, v109                              // 00000000566C: D1CB006D 05B60D0D
	v_fma_f32 v110, v14, v6, v110                              // 000000005674: D1CB006E 05BA0D0E
	v_fma_f32 v111, v15, v6, v111                              // 00000000567C: D1CB006F 05BE0D0F
	v_mfma_f32_16x16x32_fp8_fp8 v[12:15], a[120:121], a[72:73], 0// 000000005684: D3F3000C 1A029178
	v_mfma_f32_16x16x32_fp8_fp8 v[12:15], a[122:123], a[74:75], v[12:15]// 00000000568C: D3F3000C 1C32957A
	buffer_load_dword v62, s[20:23], 0 offen lds               // 000000005694: E0511000 8005003E
	s_add_u32 m0, 0x500, s50                                   // 00000000569C: 807C32FF 00000500
	v_mfma_f32_16x16x32_fp8_fp8 v[12:15], a[124:125], a[76:77], v[12:15]// 0000000056A4: D3F3000C 1C32997C
	v_mfma_f32_16x16x32_fp8_fp8 v[12:15], a[126:127], a[78:79], v[12:15]// 0000000056AC: D3F3000C 1C329D7E
	buffer_load_dword v63, s[20:23], 0 offen lds               // 0000000056B4: E0511000 8005003F
	s_add_u32 m0, 0x600, s50                                   // 0000000056BC: 807C32FF 00000600
	v_fma_f32 v84, v8, v4, v84                                 // 0000000056C4: D1CB0054 05520908
	v_fma_f32 v85, v9, v4, v85                                 // 0000000056CC: D1CB0055 05560909
	v_fma_f32 v86, v10, v4, v86                                // 0000000056D4: D1CB0056 055A090A
	v_fma_f32 v87, v11, v4, v87                                // 0000000056DC: D1CB0057 055E090B
	v_mul_f32_dpp v6, v24, v40 row_newbcast:0 row_mask:0xf bank_mask:0xf// 0000000056E4: 0A0C50FA FF015018
	v_mfma_f32_16x16x32_fp8_fp8 v[8:11], a[112:113], a[80:81], 0// 0000000056EC: D3F30008 1A02A170
	v_mfma_f32_16x16x32_fp8_fp8 v[8:11], a[114:115], a[82:83], v[8:11]// 0000000056F4: D3F30008 1C22A572
	buffer_load_dword v64, s[20:23], 0 offen lds               // 0000000056FC: E0511000 80050040
	s_add_u32 m0, 0x700, s50                                   // 000000005704: 807C32FF 00000700
	v_mfma_f32_16x16x32_fp8_fp8 v[8:11], a[116:117], a[84:85], v[8:11]// 00000000570C: D3F30008 1C22A974
	v_mfma_f32_16x16x32_fp8_fp8 v[8:11], a[118:119], a[86:87], v[8:11]// 000000005714: D3F30008 1C22AD76
	buffer_load_dword v65, s[20:23], 0 offen lds               // 00000000571C: E0511000 80050041
	s_add_u32 m0, 0x800, s50                                   // 000000005724: 807C32FF 00000800
	v_fma_f32 v112, v12, v4, v112                              // 00000000572C: D1CB0070 05C2090C
	v_fma_f32 v113, v13, v4, v113                              // 000000005734: D1CB0071 05C6090D
	v_fma_f32 v114, v14, v4, v114                              // 00000000573C: D1CB0072 05CA090E
	v_fma_f32 v115, v15, v4, v115                              // 000000005744: D1CB0073 05CE090F
	v_mfma_f32_16x16x32_fp8_fp8 v[12:15], a[120:121], a[80:81], 0// 00000000574C: D3F3000C 1A02A178
	v_mfma_f32_16x16x32_fp8_fp8 v[12:15], a[122:123], a[82:83], v[12:15]// 000000005754: D3F3000C 1C32A57A
	buffer_load_dword v66, s[20:23], 0 offen lds               // 00000000575C: E0511000 80050042
	s_add_u32 m0, 0x900, s50                                   // 000000005764: 807C32FF 00000900
	v_mfma_f32_16x16x32_fp8_fp8 v[12:15], a[124:125], a[84:85], v[12:15]// 00000000576C: D3F3000C 1C32A97C
	v_mfma_f32_16x16x32_fp8_fp8 v[12:15], a[126:127], a[86:87], v[12:15]// 000000005774: D3F3000C 1C32AD7E
	buffer_load_dword v67, s[20:23], 0 offen lds               // 00000000577C: E0511000 80050043
	s_add_u32 m0, 0xa00, s50                                   // 000000005784: 807C32FF 00000A00
	v_fma_f32 v88, v8, v6, v88                                 // 00000000578C: D1CB0058 05620D08
	v_fma_f32 v89, v9, v6, v89                                 // 000000005794: D1CB0059 05660D09
	v_fma_f32 v90, v10, v6, v90                                // 00000000579C: D1CB005A 056A0D0A
	v_fma_f32 v91, v11, v6, v91                                // 0000000057A4: D1CB005B 056E0D0B
	v_mul_f32_dpp v4, v24, v41 row_newbcast:0 row_mask:0xf bank_mask:0xf// 0000000057AC: 0A0852FA FF015018
	v_mfma_f32_16x16x32_fp8_fp8 v[8:11], a[112:113], a[88:89], 0// 0000000057B4: D3F30008 1A02B170
	v_mfma_f32_16x16x32_fp8_fp8 v[8:11], a[114:115], a[90:91], v[8:11]// 0000000057BC: D3F30008 1C22B572
	buffer_load_dword v68, s[20:23], 0 offen lds               // 0000000057C4: E0511000 80050044
	s_add_u32 m0, 0xb00, s50                                   // 0000000057CC: 807C32FF 00000B00
	v_mfma_f32_16x16x32_fp8_fp8 v[8:11], a[116:117], a[92:93], v[8:11]// 0000000057D4: D3F30008 1C22B974
	v_mfma_f32_16x16x32_fp8_fp8 v[8:11], a[118:119], a[94:95], v[8:11]// 0000000057DC: D3F30008 1C22BD76
	buffer_load_dword v69, s[20:23], 0 offen lds               // 0000000057E4: E0511000 80050045
	s_add_u32 m0, 0xc00, s50                                   // 0000000057EC: 807C32FF 00000C00
	v_fma_f32 v116, v12, v6, v116                              // 0000000057F4: D1CB0074 05D20D0C
	v_fma_f32 v117, v13, v6, v117                              // 0000000057FC: D1CB0075 05D60D0D
	v_fma_f32 v118, v14, v6, v118                              // 000000005804: D1CB0076 05DA0D0E
	v_fma_f32 v119, v15, v6, v119                              // 00000000580C: D1CB0077 05DE0D0F
	v_mfma_f32_16x16x32_fp8_fp8 v[12:15], a[120:121], a[88:89], 0// 000000005814: D3F3000C 1A02B178
	v_mfma_f32_16x16x32_fp8_fp8 v[12:15], a[122:123], a[90:91], v[12:15]// 00000000581C: D3F3000C 1C32B57A
	buffer_load_dword v70, s[20:23], 0 offen lds               // 000000005824: E0511000 80050046
	s_add_u32 m0, 0xd00, s50                                   // 00000000582C: 807C32FF 00000D00
	v_mfma_f32_16x16x32_fp8_fp8 v[12:15], a[124:125], a[92:93], v[12:15]// 000000005834: D3F3000C 1C32B97C
	v_mfma_f32_16x16x32_fp8_fp8 v[12:15], a[126:127], a[94:95], v[12:15]// 00000000583C: D3F3000C 1C32BD7E
	buffer_load_dword v71, s[20:23], 0 offen lds               // 000000005844: E0511000 80050047
	s_add_u32 m0, 0, s48                                       // 00000000584C: 807C3080
	v_fma_f32 v92, v8, v4, v92                                 // 000000005850: D1CB005C 05720908
	v_fma_f32 v93, v9, v4, v93                                 // 000000005858: D1CB005D 05760909
	v_fma_f32 v94, v10, v4, v94                                // 000000005860: D1CB005E 057A090A
	v_fma_f32 v95, v11, v4, v95                                // 000000005868: D1CB005F 057E090B
	v_mul_f32_dpp v6, v24, v42 row_newbcast:0 row_mask:0xf bank_mask:0xf// 000000005870: 0A0C54FA FF015018
	v_mfma_f32_16x16x32_fp8_fp8 v[8:11], a[112:113], a[96:97], 0// 000000005878: D3F30008 1A02C170
	v_mfma_f32_16x16x32_fp8_fp8 v[8:11], a[114:115], a[98:99], v[8:11]// 000000005880: D3F30008 1C22C572
	buffer_load_dword v51, v30, s[28:31], 0 offen              // 000000005888: E0501000 8007331E
	v_mfma_f32_16x16x32_fp8_fp8 v[8:11], a[116:117], a[100:101], v[8:11]// 000000005890: D3F30008 1C22C974
	v_mfma_f32_16x16x32_fp8_fp8 v[8:11], a[118:119], a[102:103], v[8:11]// 000000005898: D3F30008 1C22CD76
	buffer_load_dword v52, v31, s[28:31], 0 offen              // 0000000058A0: E0501000 8007341F
	v_fma_f32 v120, v12, v4, v120                              // 0000000058A8: D1CB0078 05E2090C
	v_fma_f32 v121, v13, v4, v121                              // 0000000058B0: D1CB0079 05E6090D
	v_fma_f32 v122, v14, v4, v122                              // 0000000058B8: D1CB007A 05EA090E
	v_fma_f32 v123, v15, v4, v123                              // 0000000058C0: D1CB007B 05EE090F
	v_mfma_f32_16x16x32_fp8_fp8 v[12:15], a[120:121], a[96:97], 0// 0000000058C8: D3F3000C 1A02C178
	v_mfma_f32_16x16x32_fp8_fp8 v[12:15], a[122:123], a[98:99], v[12:15]// 0000000058D0: D3F3000C 1C32C57A
	buffer_load_dword v53, v32, s[28:31], 0 offen              // 0000000058D8: E0501000 80073520
	v_mfma_f32_16x16x32_fp8_fp8 v[12:15], a[124:125], a[100:101], v[12:15]// 0000000058E0: D3F3000C 1C32C97C
	v_mfma_f32_16x16x32_fp8_fp8 v[12:15], a[126:127], a[102:103], v[12:15]// 0000000058E8: D3F3000C 1C32CD7E
	buffer_load_dword v54, v33, s[28:31], 0 offen              // 0000000058F0: E0501000 80073621
	v_fma_f32 v96, v8, v6, v96                                 // 0000000058F8: D1CB0060 05820D08
	v_fma_f32 v97, v9, v6, v97                                 // 000000005900: D1CB0061 05860D09
	v_fma_f32 v98, v10, v6, v98                                // 000000005908: D1CB0062 058A0D0A
	v_fma_f32 v99, v11, v6, v99                                // 000000005910: D1CB0063 058E0D0B
	v_mul_f32_dpp v4, v24, v43 row_newbcast:0 row_mask:0xf bank_mask:0xf// 000000005918: 0A0856FA FF015018
	v_mfma_f32_16x16x32_fp8_fp8 v[8:11], a[112:113], a[104:105], 0// 000000005920: D3F30008 1A02D170
	v_mfma_f32_16x16x32_fp8_fp8 v[8:11], a[114:115], a[106:107], v[8:11]// 000000005928: D3F30008 1C22D572
	buffer_load_dword v55, v34, s[28:31], 0 offen              // 000000005930: E0501000 80073722
	v_mfma_f32_16x16x32_fp8_fp8 v[8:11], a[116:117], a[108:109], v[8:11]// 000000005938: D3F30008 1C22D974
	v_mfma_f32_16x16x32_fp8_fp8 v[8:11], a[118:119], a[110:111], v[8:11]// 000000005940: D3F30008 1C22DD76
	buffer_load_dword v56, v35, s[28:31], 0 offen              // 000000005948: E0501000 80073823
	v_fma_f32 v124, v12, v6, v124                              // 000000005950: D1CB007C 05F20D0C
	v_fma_f32 v125, v13, v6, v125                              // 000000005958: D1CB007D 05F60D0D
	v_fma_f32 v126, v14, v6, v126                              // 000000005960: D1CB007E 05FA0D0E
	v_fma_f32 v127, v15, v6, v127                              // 000000005968: D1CB007F 05FE0D0F
	v_mfma_f32_16x16x32_fp8_fp8 v[12:15], a[120:121], a[104:105], 0// 000000005970: D3F3000C 1A02D178
	v_mfma_f32_16x16x32_fp8_fp8 v[12:15], a[122:123], a[106:107], v[12:15]// 000000005978: D3F3000C 1C32D57A
	buffer_load_dword v57, v36, s[28:31], 0 offen              // 000000005980: E0501000 80073924
	v_mfma_f32_16x16x32_fp8_fp8 v[12:15], a[124:125], a[108:109], v[12:15]// 000000005988: D3F3000C 1C32D97C
	v_mfma_f32_16x16x32_fp8_fp8 v[12:15], a[126:127], a[110:111], v[12:15]// 000000005990: D3F3000C 1C32DD7E
	v_fma_f32 v100, v8, v4, v100                               // 000000005998: D1CB0064 05920908
	v_fma_f32 v101, v9, v4, v101                               // 0000000059A0: D1CB0065 05960909
	v_fma_f32 v102, v10, v4, v102                              // 0000000059A8: D1CB0066 059A090A
	v_fma_f32 v103, v11, v4, v103                              // 0000000059B0: D1CB0067 059E090B
	v_fma_f32 v128, v12, v4, v128                              // 0000000059B8: D1CB0080 0602090C
	v_fma_f32 v129, v13, v4, v129                              // 0000000059C0: D1CB0081 0606090D
	v_fma_f32 v130, v14, v4, v130                              // 0000000059C8: D1CB0082 060A090E
	v_fma_f32 v131, v15, v4, v131                              // 0000000059D0: D1CB0083 060E090F
	s_waitcnt vmcnt(26)                                        // 0000000059D8: BF8C4F7A
	s_barrier                                                  // 0000000059DC: BF8A0000
	v_mul_f32_dpp v4, v27, v37 row_newbcast:0 row_mask:0xf bank_mask:0xf// 0000000059E0: 0A084AFA FF01501B
	v_mfma_f32_16x16x32_fp8_fp8 v[8:11], a[128:129], a[56:57], 0// 0000000059E8: D3F30008 1A027180
	buffer_load_dword v28, v23, s[32:35], 0 offen              // 0000000059F0: E0501000 80081C17
	v_mfma_f32_16x16x32_fp8_fp8 v[8:11], a[130:131], a[58:59], v[8:11]// 0000000059F8: D3F30008 1C227582
	buffer_load_dwordx4 a[112:115], v72, s[84:87], 0 offen     // 000000005A00: E05C1000 80957048
	v_mfma_f32_16x16x32_fp8_fp8 v[8:11], a[132:133], a[60:61], v[8:11]// 000000005A08: D3F30008 1C227984
	v_mfma_f32_16x16x32_fp8_fp8 v[8:11], a[134:135], a[62:63], v[8:11]// 000000005A10: D3F30008 1C227D86
	ds_read_b128 a[0:3], v2 offset:14464                       // 000000005A18: DBFE3880 00000002
	ds_read_b128 a[4:7], v2 offset:14528                       // 000000005A20: DBFE38C0 04000002
	v_mfma_f32_16x16x32_fp8_fp8 v[12:15], a[136:137], a[56:57], 0// 000000005A28: D3F3000C 1A027188
	v_mfma_f32_16x16x32_fp8_fp8 v[12:15], a[138:139], a[58:59], v[12:15]// 000000005A30: D3F3000C 1C32758A
	buffer_load_dwordx4 a[116:119], v72, s[84:87], 0 offen offset:1024// 000000005A38: E05C1400 80957448
	v_mfma_f32_16x16x32_fp8_fp8 v[12:15], a[140:141], a[60:61], v[12:15]// 000000005A40: D3F3000C 1C32798C
	v_mfma_f32_16x16x32_fp8_fp8 v[12:15], a[142:143], a[62:63], v[12:15]// 000000005A48: D3F3000C 1C327D8E
	ds_read_b128 a[8:11], v2 offset:14976                      // 000000005A50: DBFE3A80 08000002
	ds_read_b128 a[12:15], v2 offset:15040                     // 000000005A58: DBFE3AC0 0C000002
	v_fma_f32 v132, v8, v4, v132                               // 000000005A60: D1CB0084 06120908
	v_fma_f32 v133, v9, v4, v133                               // 000000005A68: D1CB0085 06160909
	v_fma_f32 v134, v10, v4, v134                              // 000000005A70: D1CB0086 061A090A
	v_fma_f32 v135, v11, v4, v135                              // 000000005A78: D1CB0087 061E090B
	v_mul_f32_dpp v6, v27, v38 row_newbcast:0 row_mask:0xf bank_mask:0xf// 000000005A80: 0A0C4CFA FF01501B
	v_mfma_f32_16x16x32_fp8_fp8 v[8:11], a[128:129], a[64:65], 0// 000000005A88: D3F30008 1A028180
	v_mfma_f32_16x16x32_fp8_fp8 v[8:11], a[130:131], a[66:67], v[8:11]// 000000005A90: D3F30008 1C228582
	buffer_load_dwordx4 a[120:123], v73, s[84:87], 0 offen     // 000000005A98: E05C1000 80957849
	v_mfma_f32_16x16x32_fp8_fp8 v[8:11], a[132:133], a[68:69], v[8:11]// 000000005AA0: D3F30008 1C228984
	v_mfma_f32_16x16x32_fp8_fp8 v[8:11], a[134:135], a[70:71], v[8:11]// 000000005AA8: D3F30008 1C228D86
	ds_read_b128 a[16:19], v2 offset:15488                     // 000000005AB0: DBFE3C80 10000002
	ds_read_b128 a[20:23], v2 offset:15552                     // 000000005AB8: DBFE3CC0 14000002
	v_fma_f32 v160, v12, v4, v160                              // 000000005AC0: D1CB00A0 0682090C
	v_fma_f32 v161, v13, v4, v161                              // 000000005AC8: D1CB00A1 0686090D
	v_fma_f32 v162, v14, v4, v162                              // 000000005AD0: D1CB00A2 068A090E
	v_fma_f32 v163, v15, v4, v163                              // 000000005AD8: D1CB00A3 068E090F
	v_mfma_f32_16x16x32_fp8_fp8 v[12:15], a[136:137], a[64:65], 0// 000000005AE0: D3F3000C 1A028188
	v_mfma_f32_16x16x32_fp8_fp8 v[12:15], a[138:139], a[66:67], v[12:15]// 000000005AE8: D3F3000C 1C32858A
	buffer_load_dwordx4 a[124:127], v73, s[84:87], 0 offen offset:1024// 000000005AF0: E05C1400 80957C49
	v_mfma_f32_16x16x32_fp8_fp8 v[12:15], a[140:141], a[68:69], v[12:15]// 000000005AF8: D3F3000C 1C32898C
	v_mfma_f32_16x16x32_fp8_fp8 v[12:15], a[142:143], a[70:71], v[12:15]// 000000005B00: D3F3000C 1C328D8E
	ds_read_b128 a[24:27], v2 offset:16000                     // 000000005B08: DBFE3E80 18000002
	ds_read_b128 a[28:31], v2 offset:16064                     // 000000005B10: DBFE3EC0 1C000002
	v_fma_f32 v136, v8, v6, v136                               // 000000005B18: D1CB0088 06220D08
	v_fma_f32 v137, v9, v6, v137                               // 000000005B20: D1CB0089 06260D09
	v_fma_f32 v138, v10, v6, v138                              // 000000005B28: D1CB008A 062A0D0A
	v_fma_f32 v139, v11, v6, v139                              // 000000005B30: D1CB008B 062E0D0B
	v_mul_f32_dpp v4, v27, v39 row_newbcast:0 row_mask:0xf bank_mask:0xf// 000000005B38: 0A084EFA FF01501B
	v_mfma_f32_16x16x32_fp8_fp8 v[8:11], a[128:129], a[72:73], 0// 000000005B40: D3F30008 1A029180
	v_mfma_f32_16x16x32_fp8_fp8 v[8:11], a[130:131], a[74:75], v[8:11]// 000000005B48: D3F30008 1C229582
	v_mfma_f32_16x16x32_fp8_fp8 v[8:11], a[132:133], a[76:77], v[8:11]// 000000005B50: D3F30008 1C229984
	v_mfma_f32_16x16x32_fp8_fp8 v[8:11], a[134:135], a[78:79], v[8:11]// 000000005B58: D3F30008 1C229D86
	ds_read_b128 a[32:35], v2 offset:16512                     // 000000005B60: DBFE4080 20000002
	ds_read_b128 a[36:39], v2 offset:16576                     // 000000005B68: DBFE40C0 24000002
	v_fma_f32 v164, v12, v6, v164                              // 000000005B70: D1CB00A4 06920D0C
	v_fma_f32 v165, v13, v6, v165                              // 000000005B78: D1CB00A5 06960D0D
	v_fma_f32 v166, v14, v6, v166                              // 000000005B80: D1CB00A6 069A0D0E
	v_fma_f32 v167, v15, v6, v167                              // 000000005B88: D1CB00A7 069E0D0F
	v_mfma_f32_16x16x32_fp8_fp8 v[12:15], a[136:137], a[72:73], 0// 000000005B90: D3F3000C 1A029188
	v_mfma_f32_16x16x32_fp8_fp8 v[12:15], a[138:139], a[74:75], v[12:15]// 000000005B98: D3F3000C 1C32958A
	v_mfma_f32_16x16x32_fp8_fp8 v[12:15], a[140:141], a[76:77], v[12:15]// 000000005BA0: D3F3000C 1C32998C
	v_mfma_f32_16x16x32_fp8_fp8 v[12:15], a[142:143], a[78:79], v[12:15]// 000000005BA8: D3F3000C 1C329D8E
	ds_read_b128 a[40:43], v2 offset:17024                     // 000000005BB0: DBFE4280 28000002
	ds_read_b128 a[44:47], v2 offset:17088                     // 000000005BB8: DBFE42C0 2C000002
	v_fma_f32 v140, v8, v4, v140                               // 000000005BC0: D1CB008C 06320908
	v_fma_f32 v141, v9, v4, v141                               // 000000005BC8: D1CB008D 06360909
	v_fma_f32 v142, v10, v4, v142                              // 000000005BD0: D1CB008E 063A090A
	v_fma_f32 v143, v11, v4, v143                              // 000000005BD8: D1CB008F 063E090B
	v_mul_f32_dpp v6, v27, v40 row_newbcast:0 row_mask:0xf bank_mask:0xf// 000000005BE0: 0A0C50FA FF01501B
	v_mfma_f32_16x16x32_fp8_fp8 v[8:11], a[128:129], a[80:81], 0// 000000005BE8: D3F30008 1A02A180
	v_mfma_f32_16x16x32_fp8_fp8 v[8:11], a[130:131], a[82:83], v[8:11]// 000000005BF0: D3F30008 1C22A582
	v_mfma_f32_16x16x32_fp8_fp8 v[8:11], a[132:133], a[84:85], v[8:11]// 000000005BF8: D3F30008 1C22A984
	v_mfma_f32_16x16x32_fp8_fp8 v[8:11], a[134:135], a[86:87], v[8:11]// 000000005C00: D3F30008 1C22AD86
	ds_read_b128 a[48:51], v2 offset:17536                     // 000000005C08: DBFE4480 30000002
	ds_read_b128 a[52:55], v2 offset:17600                     // 000000005C10: DBFE44C0 34000002
	v_fma_f32 v168, v12, v4, v168                              // 000000005C18: D1CB00A8 06A2090C
	v_fma_f32 v169, v13, v4, v169                              // 000000005C20: D1CB00A9 06A6090D
	v_fma_f32 v170, v14, v4, v170                              // 000000005C28: D1CB00AA 06AA090E
	v_fma_f32 v171, v15, v4, v171                              // 000000005C30: D1CB00AB 06AE090F
	v_mfma_f32_16x16x32_fp8_fp8 v[12:15], a[136:137], a[80:81], 0// 000000005C38: D3F3000C 1A02A188
	v_mfma_f32_16x16x32_fp8_fp8 v[12:15], a[138:139], a[82:83], v[12:15]// 000000005C40: D3F3000C 1C32A58A
	v_mfma_f32_16x16x32_fp8_fp8 v[12:15], a[140:141], a[84:85], v[12:15]// 000000005C48: D3F3000C 1C32A98C
	v_mfma_f32_16x16x32_fp8_fp8 v[12:15], a[142:143], a[86:87], v[12:15]// 000000005C50: D3F3000C 1C32AD8E
	v_fma_f32 v144, v8, v6, v144                               // 000000005C58: D1CB0090 06420D08
	v_fma_f32 v145, v9, v6, v145                               // 000000005C60: D1CB0091 06460D09
	v_fma_f32 v146, v10, v6, v146                              // 000000005C68: D1CB0092 064A0D0A
	v_fma_f32 v147, v11, v6, v147                              // 000000005C70: D1CB0093 064E0D0B
	v_mul_f32_dpp v4, v27, v41 row_newbcast:0 row_mask:0xf bank_mask:0xf// 000000005C78: 0A0852FA FF01501B
	v_mfma_f32_16x16x32_fp8_fp8 v[8:11], a[128:129], a[88:89], 0// 000000005C80: D3F30008 1A02B180
	v_mfma_f32_16x16x32_fp8_fp8 v[8:11], a[130:131], a[90:91], v[8:11]// 000000005C88: D3F30008 1C22B582
	v_mfma_f32_16x16x32_fp8_fp8 v[8:11], a[132:133], a[92:93], v[8:11]// 000000005C90: D3F30008 1C22B984
	v_mfma_f32_16x16x32_fp8_fp8 v[8:11], a[134:135], a[94:95], v[8:11]// 000000005C98: D3F30008 1C22BD86
	v_fma_f32 v172, v12, v6, v172                              // 000000005CA0: D1CB00AC 06B20D0C
	v_fma_f32 v173, v13, v6, v173                              // 000000005CA8: D1CB00AD 06B60D0D
	v_fma_f32 v174, v14, v6, v174                              // 000000005CB0: D1CB00AE 06BA0D0E
	v_fma_f32 v175, v15, v6, v175                              // 000000005CB8: D1CB00AF 06BE0D0F
	v_mfma_f32_16x16x32_fp8_fp8 v[12:15], a[136:137], a[88:89], 0// 000000005CC0: D3F3000C 1A02B188
	v_mfma_f32_16x16x32_fp8_fp8 v[12:15], a[138:139], a[90:91], v[12:15]// 000000005CC8: D3F3000C 1C32B58A
	v_mfma_f32_16x16x32_fp8_fp8 v[12:15], a[140:141], a[92:93], v[12:15]// 000000005CD0: D3F3000C 1C32B98C
	v_mfma_f32_16x16x32_fp8_fp8 v[12:15], a[142:143], a[94:95], v[12:15]// 000000005CD8: D3F3000C 1C32BD8E
	v_fma_f32 v148, v8, v4, v148                               // 000000005CE0: D1CB0094 06520908
	v_fma_f32 v149, v9, v4, v149                               // 000000005CE8: D1CB0095 06560909
	v_fma_f32 v150, v10, v4, v150                              // 000000005CF0: D1CB0096 065A090A
	v_fma_f32 v151, v11, v4, v151                              // 000000005CF8: D1CB0097 065E090B
	v_mul_f32_dpp v6, v27, v42 row_newbcast:0 row_mask:0xf bank_mask:0xf// 000000005D00: 0A0C54FA FF01501B
	v_mfma_f32_16x16x32_fp8_fp8 v[8:11], a[128:129], a[96:97], 0// 000000005D08: D3F30008 1A02C180
	v_mfma_f32_16x16x32_fp8_fp8 v[8:11], a[130:131], a[98:99], v[8:11]// 000000005D10: D3F30008 1C22C582
	v_mfma_f32_16x16x32_fp8_fp8 v[8:11], a[132:133], a[100:101], v[8:11]// 000000005D18: D3F30008 1C22C984
	v_mfma_f32_16x16x32_fp8_fp8 v[8:11], a[134:135], a[102:103], v[8:11]// 000000005D20: D3F30008 1C22CD86
	v_fma_f32 v176, v12, v4, v176                              // 000000005D28: D1CB00B0 06C2090C
	v_fma_f32 v177, v13, v4, v177                              // 000000005D30: D1CB00B1 06C6090D
	v_fma_f32 v178, v14, v4, v178                              // 000000005D38: D1CB00B2 06CA090E
	v_fma_f32 v179, v15, v4, v179                              // 000000005D40: D1CB00B3 06CE090F
	v_mfma_f32_16x16x32_fp8_fp8 v[12:15], a[136:137], a[96:97], 0// 000000005D48: D3F3000C 1A02C188
	v_mfma_f32_16x16x32_fp8_fp8 v[12:15], a[138:139], a[98:99], v[12:15]// 000000005D50: D3F3000C 1C32C58A
	v_mfma_f32_16x16x32_fp8_fp8 v[12:15], a[140:141], a[100:101], v[12:15]// 000000005D58: D3F3000C 1C32C98C
	v_mfma_f32_16x16x32_fp8_fp8 v[12:15], a[142:143], a[102:103], v[12:15]// 000000005D60: D3F3000C 1C32CD8E
	v_fma_f32 v152, v8, v6, v152                               // 000000005D68: D1CB0098 06620D08
	v_fma_f32 v153, v9, v6, v153                               // 000000005D70: D1CB0099 06660D09
	v_fma_f32 v154, v10, v6, v154                              // 000000005D78: D1CB009A 066A0D0A
	v_fma_f32 v155, v11, v6, v155                              // 000000005D80: D1CB009B 066E0D0B
	v_mul_f32_dpp v4, v27, v43 row_newbcast:0 row_mask:0xf bank_mask:0xf// 000000005D88: 0A0856FA FF01501B
	v_mfma_f32_16x16x32_fp8_fp8 v[8:11], a[128:129], a[104:105], 0// 000000005D90: D3F30008 1A02D180
	s_add_u32 s60, 0x180, s80                                  // 000000005D98: 803C50FF 00000180
	s_cmp_lt_u32 s60, s81                                      // 000000005DA0: BF0A513C
	s_cselect_b32 s57, s57, 0                                  // 000000005DA4: 85398039
	s_cselect_b32 s3, s3, 0                                    // 000000005DA8: 85038003
	v_mfma_f32_16x16x32_fp8_fp8 v[8:11], a[130:131], a[106:107], v[8:11]// 000000005DAC: D3F30008 1C22D582
	s_add_u32 s60, 0x100, s80                                  // 000000005DB4: 803C50FF 00000100
	s_cmp_lt_u32 s60, s81                                      // 000000005DBC: BF0A513C
	s_cselect_b32 s58, s58, 0                                  // 000000005DC0: 853A803A
	v_mfma_f32_16x16x32_fp8_fp8 v[8:11], a[132:133], a[108:109], v[8:11]// 000000005DC4: D3F30008 1C22D984
	s_add_u32 s60, 0x100, s80                                  // 000000005DCC: 803C50FF 00000100
	s_cmp_lt_u32 s60, s81                                      // 000000005DD4: BF0A513C
	s_cselect_b32 s83, s83, 0                                  // 000000005DD8: 85538053
	s_cselect_b32 s4, s4, 0                                    // 000000005DDC: 85048004
	v_mfma_f32_16x16x32_fp8_fp8 v[8:11], a[134:135], a[110:111], v[8:11]// 000000005DE0: D3F30008 1C22DD86
	s_add_u32 s24, s58, s24                                    // 000000005DE8: 8018183A
	s_addc_u32 s25, 0, s25                                     // 000000005DEC: 82191980
	v_fma_f32 v180, v12, v6, v180                              // 000000005DF0: D1CB00B4 06D20D0C
	v_fma_f32 v181, v13, v6, v181                              // 000000005DF8: D1CB00B5 06D60D0D
	v_fma_f32 v182, v14, v6, v182                              // 000000005E00: D1CB00B6 06DA0D0E
	v_fma_f32 v183, v15, v6, v183                              // 000000005E08: D1CB00B7 06DE0D0F
	v_mfma_f32_16x16x32_fp8_fp8 v[12:15], a[136:137], a[104:105], 0// 000000005E10: D3F3000C 1A02D188
	s_add_u32 s20, s57, s20                                    // 000000005E18: 80141439
	s_addc_u32 s21, 0, s21                                     // 000000005E1C: 82151580
	s_add_u32 s28, s3, s28                                     // 000000005E20: 801C1C03
	s_addc_u32 s29, 0, s29                                     // 000000005E24: 821D1D80
	v_mfma_f32_16x16x32_fp8_fp8 v[12:15], a[138:139], a[106:107], v[12:15]// 000000005E28: D3F3000C 1C32D58A
	s_add_u32 s84, s83, s84                                    // 000000005E30: 80545453
	s_addc_u32 s85, 0, s85                                     // 000000005E34: 82555580
	v_mfma_f32_16x16x32_fp8_fp8 v[12:15], a[140:141], a[108:109], v[12:15]// 000000005E38: D3F3000C 1C32D98C
	s_add_u32 s32, s4, s32                                     // 000000005E40: 80202004
	s_addc_u32 s33, 0, s33                                     // 000000005E44: 82212180
	v_mfma_f32_16x16x32_fp8_fp8 v[12:15], a[142:143], a[110:111], v[12:15]// 000000005E48: D3F3000C 1C32DD8E
	v_fma_f32 v156, v8, v4, v156                               // 000000005E50: D1CB009C 06720908
	v_fma_f32 v157, v9, v4, v157                               // 000000005E58: D1CB009D 06760909
	v_fma_f32 v158, v10, v4, v158                              // 000000005E60: D1CB009E 067A090A
	v_fma_f32 v159, v11, v4, v159                              // 000000005E68: D1CB009F 067E090B
	v_fma_f32 v184, v12, v4, v184                              // 000000005E70: D1CB00B8 06E2090C
	v_fma_f32 v185, v13, v4, v185                              // 000000005E78: D1CB00B9 06E6090D
	v_fma_f32 v186, v14, v4, v186                              // 000000005E80: D1CB00BA 06EA090E
	v_fma_f32 v187, v15, v4, v187                              // 000000005E88: D1CB00BB 06EE090F
	s_addk_i32 s80, 0x80                                       // 000000005E90: B7500080
	s_cmp_lt_i32 s80, s81                                      // 000000005E94: BF045150
	s_cbranch_scc0 label_1206                                  // 000000005E98: BF8404DF
	s_waitcnt vmcnt(26) lgkmcnt(0)                             // 000000005E9C: BF8C407A
	v_mul_f32_dpp v4, v25, v44 row_newbcast:0 row_mask:0xf bank_mask:0xf// 000000005EA0: 0A0858FA FF015019
	v_mfma_f32_16x16x32_fp8_fp8 v[8:11], a[144:145], a[0:1], 0 // 000000005EA8: D3F30008 1A020190
	buffer_load_dword v26, v22, s[32:35], 0 offen              // 000000005EB0: E0501000 80081A16
	v_mfma_f32_16x16x32_fp8_fp8 v[8:11], a[146:147], a[2:3], v[8:11]// 000000005EB8: D3F30008 1C220592
	buffer_load_dwordx4 a[128:131], v72, s[24:27], 0 offen     // 000000005EC0: E05C1000 80868048
	v_mfma_f32_16x16x32_fp8_fp8 v[8:11], a[148:149], a[4:5], v[8:11]// 000000005EC8: D3F30008 1C220994
	v_mfma_f32_16x16x32_fp8_fp8 v[8:11], a[150:151], a[6:7], v[8:11]// 000000005ED0: D3F30008 1C220D96
	v_mfma_f32_16x16x32_fp8_fp8 v[12:15], a[152:153], a[0:1], 0// 000000005ED8: D3F3000C 1A020198
	v_mfma_f32_16x16x32_fp8_fp8 v[12:15], a[154:155], a[2:3], v[12:15]// 000000005EE0: D3F3000C 1C32059A
	buffer_load_dwordx4 a[132:135], v72, s[24:27], 0 offen offset:1024// 000000005EE8: E05C1400 80868448
	v_mfma_f32_16x16x32_fp8_fp8 v[12:15], a[156:157], a[4:5], v[12:15]// 000000005EF0: D3F3000C 1C32099C
	v_mfma_f32_16x16x32_fp8_fp8 v[12:15], a[158:159], a[6:7], v[12:15]// 000000005EF8: D3F3000C 1C320D9E
	v_fma_f32 v76, v8, v4, v76                                 // 000000005F00: D1CB004C 05320908
	v_fma_f32 v77, v9, v4, v77                                 // 000000005F08: D1CB004D 05360909
	v_fma_f32 v78, v10, v4, v78                                // 000000005F10: D1CB004E 053A090A
	v_fma_f32 v79, v11, v4, v79                                // 000000005F18: D1CB004F 053E090B
	v_mul_f32_dpp v6, v25, v45 row_newbcast:0 row_mask:0xf bank_mask:0xf// 000000005F20: 0A0C5AFA FF015019
	v_mfma_f32_16x16x32_fp8_fp8 v[8:11], a[144:145], a[8:9], 0 // 000000005F28: D3F30008 1A021190
	v_mfma_f32_16x16x32_fp8_fp8 v[8:11], a[146:147], a[10:11], v[8:11]// 000000005F30: D3F30008 1C221592
	buffer_load_dwordx4 a[136:139], v73, s[24:27], 0 offen     // 000000005F38: E05C1000 80868849
	v_mfma_f32_16x16x32_fp8_fp8 v[8:11], a[148:149], a[12:13], v[8:11]// 000000005F40: D3F30008 1C221994
	v_mfma_f32_16x16x32_fp8_fp8 v[8:11], a[150:151], a[14:15], v[8:11]// 000000005F48: D3F30008 1C221D96
	v_fma_f32 v104, v12, v4, v104                              // 000000005F50: D1CB0068 05A2090C
	v_fma_f32 v105, v13, v4, v105                              // 000000005F58: D1CB0069 05A6090D
	v_fma_f32 v106, v14, v4, v106                              // 000000005F60: D1CB006A 05AA090E
	v_fma_f32 v107, v15, v4, v107                              // 000000005F68: D1CB006B 05AE090F
	v_mfma_f32_16x16x32_fp8_fp8 v[12:15], a[152:153], a[8:9], 0// 000000005F70: D3F3000C 1A021198
	v_mfma_f32_16x16x32_fp8_fp8 v[12:15], a[154:155], a[10:11], v[12:15]// 000000005F78: D3F3000C 1C32159A
	buffer_load_dwordx4 a[140:143], v73, s[24:27], 0 offen offset:1024// 000000005F80: E05C1400 80868C49
	buffer_load_dword v58, s[20:23], 0 offen lds               // 000000005F88: E0511000 8005003A
	s_add_u32 m0, 0x100, s48                                   // 000000005F90: 807C30FF 00000100
	v_mfma_f32_16x16x32_fp8_fp8 v[12:15], a[156:157], a[12:13], v[12:15]// 000000005F98: D3F3000C 1C32199C
	v_mfma_f32_16x16x32_fp8_fp8 v[12:15], a[158:159], a[14:15], v[12:15]// 000000005FA0: D3F3000C 1C321D9E
	buffer_load_dword v59, s[20:23], 0 offen lds               // 000000005FA8: E0511000 8005003B
	s_add_u32 m0, 0x200, s48                                   // 000000005FB0: 807C30FF 00000200
	v_fma_f32 v80, v8, v6, v80                                 // 000000005FB8: D1CB0050 05420D08
	v_fma_f32 v81, v9, v6, v81                                 // 000000005FC0: D1CB0051 05460D09
	v_fma_f32 v82, v10, v6, v82                                // 000000005FC8: D1CB0052 054A0D0A
	v_fma_f32 v83, v11, v6, v83                                // 000000005FD0: D1CB0053 054E0D0B
	v_mul_f32_dpp v4, v25, v46 row_newbcast:0 row_mask:0xf bank_mask:0xf// 000000005FD8: 0A085CFA FF015019
	v_mfma_f32_16x16x32_fp8_fp8 v[8:11], a[144:145], a[16:17], 0// 000000005FE0: D3F30008 1A022190
	v_mfma_f32_16x16x32_fp8_fp8 v[8:11], a[146:147], a[18:19], v[8:11]// 000000005FE8: D3F30008 1C222592
	buffer_load_dword v60, s[20:23], 0 offen lds               // 000000005FF0: E0511000 8005003C
	s_add_u32 m0, 0x300, s48                                   // 000000005FF8: 807C30FF 00000300
	v_mfma_f32_16x16x32_fp8_fp8 v[8:11], a[148:149], a[20:21], v[8:11]// 000000006000: D3F30008 1C222994
	v_mfma_f32_16x16x32_fp8_fp8 v[8:11], a[150:151], a[22:23], v[8:11]// 000000006008: D3F30008 1C222D96
	buffer_load_dword v61, s[20:23], 0 offen lds               // 000000006010: E0511000 8005003D
	s_add_u32 m0, 0x400, s48                                   // 000000006018: 807C30FF 00000400
	v_fma_f32 v108, v12, v6, v108                              // 000000006020: D1CB006C 05B20D0C
	v_fma_f32 v109, v13, v6, v109                              // 000000006028: D1CB006D 05B60D0D
	v_fma_f32 v110, v14, v6, v110                              // 000000006030: D1CB006E 05BA0D0E
	v_fma_f32 v111, v15, v6, v111                              // 000000006038: D1CB006F 05BE0D0F
	v_mfma_f32_16x16x32_fp8_fp8 v[12:15], a[152:153], a[16:17], 0// 000000006040: D3F3000C 1A022198
	v_mfma_f32_16x16x32_fp8_fp8 v[12:15], a[154:155], a[18:19], v[12:15]// 000000006048: D3F3000C 1C32259A
	buffer_load_dword v62, s[20:23], 0 offen lds               // 000000006050: E0511000 8005003E
	s_add_u32 m0, 0x500, s48                                   // 000000006058: 807C30FF 00000500
	v_mfma_f32_16x16x32_fp8_fp8 v[12:15], a[156:157], a[20:21], v[12:15]// 000000006060: D3F3000C 1C32299C
	v_mfma_f32_16x16x32_fp8_fp8 v[12:15], a[158:159], a[22:23], v[12:15]// 000000006068: D3F3000C 1C322D9E
	buffer_load_dword v63, s[20:23], 0 offen lds               // 000000006070: E0511000 8005003F
	s_add_u32 m0, 0x600, s48                                   // 000000006078: 807C30FF 00000600
	v_fma_f32 v84, v8, v4, v84                                 // 000000006080: D1CB0054 05520908
	v_fma_f32 v85, v9, v4, v85                                 // 000000006088: D1CB0055 05560909
	v_fma_f32 v86, v10, v4, v86                                // 000000006090: D1CB0056 055A090A
	v_fma_f32 v87, v11, v4, v87                                // 000000006098: D1CB0057 055E090B
	v_mul_f32_dpp v6, v25, v47 row_newbcast:0 row_mask:0xf bank_mask:0xf// 0000000060A0: 0A0C5EFA FF015019
	v_mfma_f32_16x16x32_fp8_fp8 v[8:11], a[144:145], a[24:25], 0// 0000000060A8: D3F30008 1A023190
	v_mfma_f32_16x16x32_fp8_fp8 v[8:11], a[146:147], a[26:27], v[8:11]// 0000000060B0: D3F30008 1C223592
	buffer_load_dword v64, s[20:23], 0 offen lds               // 0000000060B8: E0511000 80050040
	s_add_u32 m0, 0x700, s48                                   // 0000000060C0: 807C30FF 00000700
	v_mfma_f32_16x16x32_fp8_fp8 v[8:11], a[148:149], a[28:29], v[8:11]// 0000000060C8: D3F30008 1C223994
	v_mfma_f32_16x16x32_fp8_fp8 v[8:11], a[150:151], a[30:31], v[8:11]// 0000000060D0: D3F30008 1C223D96
	buffer_load_dword v65, s[20:23], 0 offen lds               // 0000000060D8: E0511000 80050041
	s_add_u32 m0, 0x800, s48                                   // 0000000060E0: 807C30FF 00000800
	v_fma_f32 v112, v12, v4, v112                              // 0000000060E8: D1CB0070 05C2090C
	v_fma_f32 v113, v13, v4, v113                              // 0000000060F0: D1CB0071 05C6090D
	v_fma_f32 v114, v14, v4, v114                              // 0000000060F8: D1CB0072 05CA090E
	v_fma_f32 v115, v15, v4, v115                              // 000000006100: D1CB0073 05CE090F
	v_mfma_f32_16x16x32_fp8_fp8 v[12:15], a[152:153], a[24:25], 0// 000000006108: D3F3000C 1A023198
	v_mfma_f32_16x16x32_fp8_fp8 v[12:15], a[154:155], a[26:27], v[12:15]// 000000006110: D3F3000C 1C32359A
	buffer_load_dword v66, s[20:23], 0 offen lds               // 000000006118: E0511000 80050042
	s_add_u32 m0, 0x900, s48                                   // 000000006120: 807C30FF 00000900
	v_mfma_f32_16x16x32_fp8_fp8 v[12:15], a[156:157], a[28:29], v[12:15]// 000000006128: D3F3000C 1C32399C
	v_mfma_f32_16x16x32_fp8_fp8 v[12:15], a[158:159], a[30:31], v[12:15]// 000000006130: D3F3000C 1C323D9E
	buffer_load_dword v67, s[20:23], 0 offen lds               // 000000006138: E0511000 80050043
	s_add_u32 m0, 0xa00, s48                                   // 000000006140: 807C30FF 00000A00
	v_fma_f32 v88, v8, v6, v88                                 // 000000006148: D1CB0058 05620D08
	v_fma_f32 v89, v9, v6, v89                                 // 000000006150: D1CB0059 05660D09
	v_fma_f32 v90, v10, v6, v90                                // 000000006158: D1CB005A 056A0D0A
	v_fma_f32 v91, v11, v6, v91                                // 000000006160: D1CB005B 056E0D0B
	v_mul_f32_dpp v4, v25, v48 row_newbcast:0 row_mask:0xf bank_mask:0xf// 000000006168: 0A0860FA FF015019
	v_mfma_f32_16x16x32_fp8_fp8 v[8:11], a[144:145], a[32:33], 0// 000000006170: D3F30008 1A024190
	v_mfma_f32_16x16x32_fp8_fp8 v[8:11], a[146:147], a[34:35], v[8:11]// 000000006178: D3F30008 1C224592
	buffer_load_dword v68, s[20:23], 0 offen lds               // 000000006180: E0511000 80050044
	s_add_u32 m0, 0xb00, s48                                   // 000000006188: 807C30FF 00000B00
	v_mfma_f32_16x16x32_fp8_fp8 v[8:11], a[148:149], a[36:37], v[8:11]// 000000006190: D3F30008 1C224994
	v_mfma_f32_16x16x32_fp8_fp8 v[8:11], a[150:151], a[38:39], v[8:11]// 000000006198: D3F30008 1C224D96
	buffer_load_dword v69, s[20:23], 0 offen lds               // 0000000061A0: E0511000 80050045
	s_add_u32 m0, 0xc00, s48                                   // 0000000061A8: 807C30FF 00000C00
	v_fma_f32 v116, v12, v6, v116                              // 0000000061B0: D1CB0074 05D20D0C
	v_fma_f32 v117, v13, v6, v117                              // 0000000061B8: D1CB0075 05D60D0D
	v_fma_f32 v118, v14, v6, v118                              // 0000000061C0: D1CB0076 05DA0D0E
	v_fma_f32 v119, v15, v6, v119                              // 0000000061C8: D1CB0077 05DE0D0F
	v_mfma_f32_16x16x32_fp8_fp8 v[12:15], a[152:153], a[32:33], 0// 0000000061D0: D3F3000C 1A024198
	v_mfma_f32_16x16x32_fp8_fp8 v[12:15], a[154:155], a[34:35], v[12:15]// 0000000061D8: D3F3000C 1C32459A
	buffer_load_dword v70, s[20:23], 0 offen lds               // 0000000061E0: E0511000 80050046
	s_add_u32 m0, 0xd00, s48                                   // 0000000061E8: 807C30FF 00000D00
	v_mfma_f32_16x16x32_fp8_fp8 v[12:15], a[156:157], a[36:37], v[12:15]// 0000000061F0: D3F3000C 1C32499C
	v_mfma_f32_16x16x32_fp8_fp8 v[12:15], a[158:159], a[38:39], v[12:15]// 0000000061F8: D3F3000C 1C324D9E
	buffer_load_dword v71, s[20:23], 0 offen lds               // 000000006200: E0511000 80050047
	s_add_u32 m0, 0, s49                                       // 000000006208: 807C3180
	v_fma_f32 v92, v8, v4, v92                                 // 00000000620C: D1CB005C 05720908
	v_fma_f32 v93, v9, v4, v93                                 // 000000006214: D1CB005D 05760909
	v_fma_f32 v94, v10, v4, v94                                // 00000000621C: D1CB005E 057A090A
	v_fma_f32 v95, v11, v4, v95                                // 000000006224: D1CB005F 057E090B
	v_mul_f32_dpp v6, v25, v49 row_newbcast:0 row_mask:0xf bank_mask:0xf// 00000000622C: 0A0C62FA FF015019
	v_mfma_f32_16x16x32_fp8_fp8 v[8:11], a[144:145], a[40:41], 0// 000000006234: D3F30008 1A025190
	v_mfma_f32_16x16x32_fp8_fp8 v[8:11], a[146:147], a[42:43], v[8:11]// 00000000623C: D3F30008 1C225592
	buffer_load_dword v37, v30, s[28:31], 0 offen              // 000000006244: E0501000 8007251E
	v_mfma_f32_16x16x32_fp8_fp8 v[8:11], a[148:149], a[44:45], v[8:11]// 00000000624C: D3F30008 1C225994
	v_mfma_f32_16x16x32_fp8_fp8 v[8:11], a[150:151], a[46:47], v[8:11]// 000000006254: D3F30008 1C225D96
	buffer_load_dword v38, v31, s[28:31], 0 offen              // 00000000625C: E0501000 8007261F
	v_fma_f32 v120, v12, v4, v120                              // 000000006264: D1CB0078 05E2090C
	v_fma_f32 v121, v13, v4, v121                              // 00000000626C: D1CB0079 05E6090D
	v_fma_f32 v122, v14, v4, v122                              // 000000006274: D1CB007A 05EA090E
	v_fma_f32 v123, v15, v4, v123                              // 00000000627C: D1CB007B 05EE090F
	v_mfma_f32_16x16x32_fp8_fp8 v[12:15], a[152:153], a[40:41], 0// 000000006284: D3F3000C 1A025198
	v_mfma_f32_16x16x32_fp8_fp8 v[12:15], a[154:155], a[42:43], v[12:15]// 00000000628C: D3F3000C 1C32559A
	buffer_load_dword v39, v32, s[28:31], 0 offen              // 000000006294: E0501000 80072720
	v_mfma_f32_16x16x32_fp8_fp8 v[12:15], a[156:157], a[44:45], v[12:15]// 00000000629C: D3F3000C 1C32599C
	v_mfma_f32_16x16x32_fp8_fp8 v[12:15], a[158:159], a[46:47], v[12:15]// 0000000062A4: D3F3000C 1C325D9E
	buffer_load_dword v40, v33, s[28:31], 0 offen              // 0000000062AC: E0501000 80072821
	v_fma_f32 v96, v8, v6, v96                                 // 0000000062B4: D1CB0060 05820D08
	v_fma_f32 v97, v9, v6, v97                                 // 0000000062BC: D1CB0061 05860D09
	v_fma_f32 v98, v10, v6, v98                                // 0000000062C4: D1CB0062 058A0D0A
	v_fma_f32 v99, v11, v6, v99                                // 0000000062CC: D1CB0063 058E0D0B
	v_mul_f32_dpp v4, v25, v50 row_newbcast:0 row_mask:0xf bank_mask:0xf// 0000000062D4: 0A0864FA FF015019
	v_mfma_f32_16x16x32_fp8_fp8 v[8:11], a[144:145], a[48:49], 0// 0000000062DC: D3F30008 1A026190
	v_mfma_f32_16x16x32_fp8_fp8 v[8:11], a[146:147], a[50:51], v[8:11]// 0000000062E4: D3F30008 1C226592
	buffer_load_dword v41, v34, s[28:31], 0 offen              // 0000000062EC: E0501000 80072922
	v_mfma_f32_16x16x32_fp8_fp8 v[8:11], a[148:149], a[52:53], v[8:11]// 0000000062F4: D3F30008 1C226994
	v_mfma_f32_16x16x32_fp8_fp8 v[8:11], a[150:151], a[54:55], v[8:11]// 0000000062FC: D3F30008 1C226D96
	buffer_load_dword v42, v35, s[28:31], 0 offen              // 000000006304: E0501000 80072A23
	v_fma_f32 v124, v12, v6, v124                              // 00000000630C: D1CB007C 05F20D0C
	v_fma_f32 v125, v13, v6, v125                              // 000000006314: D1CB007D 05F60D0D
	v_fma_f32 v126, v14, v6, v126                              // 00000000631C: D1CB007E 05FA0D0E
	v_fma_f32 v127, v15, v6, v127                              // 000000006324: D1CB007F 05FE0D0F
	v_mfma_f32_16x16x32_fp8_fp8 v[12:15], a[152:153], a[48:49], 0// 00000000632C: D3F3000C 1A026198
	v_mfma_f32_16x16x32_fp8_fp8 v[12:15], a[154:155], a[50:51], v[12:15]// 000000006334: D3F3000C 1C32659A
	buffer_load_dword v43, v36, s[28:31], 0 offen              // 00000000633C: E0501000 80072B24
	v_mfma_f32_16x16x32_fp8_fp8 v[12:15], a[156:157], a[52:53], v[12:15]// 000000006344: D3F3000C 1C32699C
	v_mfma_f32_16x16x32_fp8_fp8 v[12:15], a[158:159], a[54:55], v[12:15]// 00000000634C: D3F3000C 1C326D9E
	v_fma_f32 v100, v8, v4, v100                               // 000000006354: D1CB0064 05920908
	v_fma_f32 v101, v9, v4, v101                               // 00000000635C: D1CB0065 05960909
	v_fma_f32 v102, v10, v4, v102                              // 000000006364: D1CB0066 059A090A
	v_fma_f32 v103, v11, v4, v103                              // 00000000636C: D1CB0067 059E090B
	v_fma_f32 v128, v12, v4, v128                              // 000000006374: D1CB0080 0602090C
	v_fma_f32 v129, v13, v4, v129                              // 00000000637C: D1CB0081 0606090D
	v_fma_f32 v130, v14, v4, v130                              // 000000006384: D1CB0082 060A090E
	v_fma_f32 v131, v15, v4, v131                              // 00000000638C: D1CB0083 060E090F
	s_waitcnt vmcnt(26)                                        // 000000006394: BF8C4F7A
	s_barrier                                                  // 000000006398: BF8A0000
	v_mul_f32_dpp v4, v28, v44 row_newbcast:0 row_mask:0xf bank_mask:0xf// 00000000639C: 0A0858FA FF01501C
	v_mfma_f32_16x16x32_fp8_fp8 v[8:11], a[112:113], a[0:1], 0 // 0000000063A4: D3F30008 1A020170
	buffer_load_dword v29, v23, s[32:35], 0 offen              // 0000000063AC: E0501000 80081D17
	v_mfma_f32_16x16x32_fp8_fp8 v[8:11], a[114:115], a[2:3], v[8:11]// 0000000063B4: D3F30008 1C220572
	buffer_load_dwordx4 a[144:147], v72, s[84:87], 0 offen     // 0000000063BC: E05C1000 80959048
	v_mfma_f32_16x16x32_fp8_fp8 v[8:11], a[116:117], a[4:5], v[8:11]// 0000000063C4: D3F30008 1C220974
	v_mfma_f32_16x16x32_fp8_fp8 v[8:11], a[118:119], a[6:7], v[8:11]// 0000000063CC: D3F30008 1C220D76
	ds_read_b128 a[56:59], v2 offset:28928                     // 0000000063D4: DBFE7100 38000002
	ds_read_b128 a[60:63], v2 offset:28992                     // 0000000063DC: DBFE7140 3C000002
	v_mfma_f32_16x16x32_fp8_fp8 v[12:15], a[120:121], a[0:1], 0// 0000000063E4: D3F3000C 1A020178
	v_mfma_f32_16x16x32_fp8_fp8 v[12:15], a[122:123], a[2:3], v[12:15]// 0000000063EC: D3F3000C 1C32057A
	buffer_load_dwordx4 a[148:151], v72, s[84:87], 0 offen offset:1024// 0000000063F4: E05C1400 80959448
	v_mfma_f32_16x16x32_fp8_fp8 v[12:15], a[124:125], a[4:5], v[12:15]// 0000000063FC: D3F3000C 1C32097C
	v_mfma_f32_16x16x32_fp8_fp8 v[12:15], a[126:127], a[6:7], v[12:15]// 000000006404: D3F3000C 1C320D7E
	ds_read_b128 a[64:67], v2 offset:29440                     // 00000000640C: DBFE7300 40000002
	ds_read_b128 a[68:71], v2 offset:29504                     // 000000006414: DBFE7340 44000002
	v_fma_f32 v132, v8, v4, v132                               // 00000000641C: D1CB0084 06120908
	v_fma_f32 v133, v9, v4, v133                               // 000000006424: D1CB0085 06160909
	v_fma_f32 v134, v10, v4, v134                              // 00000000642C: D1CB0086 061A090A
	v_fma_f32 v135, v11, v4, v135                              // 000000006434: D1CB0087 061E090B
	v_mul_f32_dpp v6, v28, v45 row_newbcast:0 row_mask:0xf bank_mask:0xf// 00000000643C: 0A0C5AFA FF01501C
	v_mfma_f32_16x16x32_fp8_fp8 v[8:11], a[112:113], a[8:9], 0 // 000000006444: D3F30008 1A021170
	v_mfma_f32_16x16x32_fp8_fp8 v[8:11], a[114:115], a[10:11], v[8:11]// 00000000644C: D3F30008 1C221572
	buffer_load_dwordx4 a[152:155], v73, s[84:87], 0 offen     // 000000006454: E05C1000 80959849
	v_mfma_f32_16x16x32_fp8_fp8 v[8:11], a[116:117], a[12:13], v[8:11]// 00000000645C: D3F30008 1C221974
	v_mfma_f32_16x16x32_fp8_fp8 v[8:11], a[118:119], a[14:15], v[8:11]// 000000006464: D3F30008 1C221D76
	ds_read_b128 a[72:75], v2 offset:29952                     // 00000000646C: DBFE7500 48000002
	ds_read_b128 a[76:79], v2 offset:30016                     // 000000006474: DBFE7540 4C000002
	v_fma_f32 v160, v12, v4, v160                              // 00000000647C: D1CB00A0 0682090C
	v_fma_f32 v161, v13, v4, v161                              // 000000006484: D1CB00A1 0686090D
	v_fma_f32 v162, v14, v4, v162                              // 00000000648C: D1CB00A2 068A090E
	v_fma_f32 v163, v15, v4, v163                              // 000000006494: D1CB00A3 068E090F
	v_mfma_f32_16x16x32_fp8_fp8 v[12:15], a[120:121], a[8:9], 0// 00000000649C: D3F3000C 1A021178
	v_mfma_f32_16x16x32_fp8_fp8 v[12:15], a[122:123], a[10:11], v[12:15]// 0000000064A4: D3F3000C 1C32157A
	buffer_load_dwordx4 a[156:159], v73, s[84:87], 0 offen offset:1024// 0000000064AC: E05C1400 80959C49
	v_mfma_f32_16x16x32_fp8_fp8 v[12:15], a[124:125], a[12:13], v[12:15]// 0000000064B4: D3F3000C 1C32197C
	v_mfma_f32_16x16x32_fp8_fp8 v[12:15], a[126:127], a[14:15], v[12:15]// 0000000064BC: D3F3000C 1C321D7E
	ds_read_b128 a[80:83], v2 offset:30464                     // 0000000064C4: DBFE7700 50000002
	ds_read_b128 a[84:87], v2 offset:30528                     // 0000000064CC: DBFE7740 54000002
	v_fma_f32 v136, v8, v6, v136                               // 0000000064D4: D1CB0088 06220D08
	v_fma_f32 v137, v9, v6, v137                               // 0000000064DC: D1CB0089 06260D09
	v_fma_f32 v138, v10, v6, v138                              // 0000000064E4: D1CB008A 062A0D0A
	v_fma_f32 v139, v11, v6, v139                              // 0000000064EC: D1CB008B 062E0D0B
	v_mul_f32_dpp v4, v28, v46 row_newbcast:0 row_mask:0xf bank_mask:0xf// 0000000064F4: 0A085CFA FF01501C
	v_mfma_f32_16x16x32_fp8_fp8 v[8:11], a[112:113], a[16:17], 0// 0000000064FC: D3F30008 1A022170
	v_mfma_f32_16x16x32_fp8_fp8 v[8:11], a[114:115], a[18:19], v[8:11]// 000000006504: D3F30008 1C222572
	v_mfma_f32_16x16x32_fp8_fp8 v[8:11], a[116:117], a[20:21], v[8:11]// 00000000650C: D3F30008 1C222974
	v_mfma_f32_16x16x32_fp8_fp8 v[8:11], a[118:119], a[22:23], v[8:11]// 000000006514: D3F30008 1C222D76
	ds_read_b128 a[88:91], v2 offset:30976                     // 00000000651C: DBFE7900 58000002
	ds_read_b128 a[92:95], v2 offset:31040                     // 000000006524: DBFE7940 5C000002
	v_fma_f32 v164, v12, v6, v164                              // 00000000652C: D1CB00A4 06920D0C
	v_fma_f32 v165, v13, v6, v165                              // 000000006534: D1CB00A5 06960D0D
	v_fma_f32 v166, v14, v6, v166                              // 00000000653C: D1CB00A6 069A0D0E
	v_fma_f32 v167, v15, v6, v167                              // 000000006544: D1CB00A7 069E0D0F
	v_mfma_f32_16x16x32_fp8_fp8 v[12:15], a[120:121], a[16:17], 0// 00000000654C: D3F3000C 1A022178
	v_mfma_f32_16x16x32_fp8_fp8 v[12:15], a[122:123], a[18:19], v[12:15]// 000000006554: D3F3000C 1C32257A
	v_mfma_f32_16x16x32_fp8_fp8 v[12:15], a[124:125], a[20:21], v[12:15]// 00000000655C: D3F3000C 1C32297C
	v_mfma_f32_16x16x32_fp8_fp8 v[12:15], a[126:127], a[22:23], v[12:15]// 000000006564: D3F3000C 1C322D7E
	ds_read_b128 a[96:99], v2 offset:31488                     // 00000000656C: DBFE7B00 60000002
	ds_read_b128 a[100:103], v2 offset:31552                   // 000000006574: DBFE7B40 64000002
	v_fma_f32 v140, v8, v4, v140                               // 00000000657C: D1CB008C 06320908
	v_fma_f32 v141, v9, v4, v141                               // 000000006584: D1CB008D 06360909
	v_fma_f32 v142, v10, v4, v142                              // 00000000658C: D1CB008E 063A090A
	v_fma_f32 v143, v11, v4, v143                              // 000000006594: D1CB008F 063E090B
	v_mul_f32_dpp v6, v28, v47 row_newbcast:0 row_mask:0xf bank_mask:0xf// 00000000659C: 0A0C5EFA FF01501C
	v_mfma_f32_16x16x32_fp8_fp8 v[8:11], a[112:113], a[24:25], 0// 0000000065A4: D3F30008 1A023170
	v_mfma_f32_16x16x32_fp8_fp8 v[8:11], a[114:115], a[26:27], v[8:11]// 0000000065AC: D3F30008 1C223572
	v_mfma_f32_16x16x32_fp8_fp8 v[8:11], a[116:117], a[28:29], v[8:11]// 0000000065B4: D3F30008 1C223974
	v_mfma_f32_16x16x32_fp8_fp8 v[8:11], a[118:119], a[30:31], v[8:11]// 0000000065BC: D3F30008 1C223D76
	ds_read_b128 a[104:107], v2 offset:32000                   // 0000000065C4: DBFE7D00 68000002
	ds_read_b128 a[108:111], v2 offset:32064                   // 0000000065CC: DBFE7D40 6C000002
	v_fma_f32 v168, v12, v4, v168                              // 0000000065D4: D1CB00A8 06A2090C
	v_fma_f32 v169, v13, v4, v169                              // 0000000065DC: D1CB00A9 06A6090D
	v_fma_f32 v170, v14, v4, v170                              // 0000000065E4: D1CB00AA 06AA090E
	v_fma_f32 v171, v15, v4, v171                              // 0000000065EC: D1CB00AB 06AE090F
	v_mfma_f32_16x16x32_fp8_fp8 v[12:15], a[120:121], a[24:25], 0// 0000000065F4: D3F3000C 1A023178
	v_mfma_f32_16x16x32_fp8_fp8 v[12:15], a[122:123], a[26:27], v[12:15]// 0000000065FC: D3F3000C 1C32357A
	v_mfma_f32_16x16x32_fp8_fp8 v[12:15], a[124:125], a[28:29], v[12:15]// 000000006604: D3F3000C 1C32397C
	v_mfma_f32_16x16x32_fp8_fp8 v[12:15], a[126:127], a[30:31], v[12:15]// 00000000660C: D3F3000C 1C323D7E
	v_fma_f32 v144, v8, v6, v144                               // 000000006614: D1CB0090 06420D08
	v_fma_f32 v145, v9, v6, v145                               // 00000000661C: D1CB0091 06460D09
	v_fma_f32 v146, v10, v6, v146                              // 000000006624: D1CB0092 064A0D0A
	v_fma_f32 v147, v11, v6, v147                              // 00000000662C: D1CB0093 064E0D0B
	v_mul_f32_dpp v4, v28, v48 row_newbcast:0 row_mask:0xf bank_mask:0xf// 000000006634: 0A0860FA FF01501C
	v_mfma_f32_16x16x32_fp8_fp8 v[8:11], a[112:113], a[32:33], 0// 00000000663C: D3F30008 1A024170
	v_mfma_f32_16x16x32_fp8_fp8 v[8:11], a[114:115], a[34:35], v[8:11]// 000000006644: D3F30008 1C224572
	v_mfma_f32_16x16x32_fp8_fp8 v[8:11], a[116:117], a[36:37], v[8:11]// 00000000664C: D3F30008 1C224974
	v_mfma_f32_16x16x32_fp8_fp8 v[8:11], a[118:119], a[38:39], v[8:11]// 000000006654: D3F30008 1C224D76
	v_fma_f32 v172, v12, v6, v172                              // 00000000665C: D1CB00AC 06B20D0C
	v_fma_f32 v173, v13, v6, v173                              // 000000006664: D1CB00AD 06B60D0D
	v_fma_f32 v174, v14, v6, v174                              // 00000000666C: D1CB00AE 06BA0D0E
	v_fma_f32 v175, v15, v6, v175                              // 000000006674: D1CB00AF 06BE0D0F
	v_mfma_f32_16x16x32_fp8_fp8 v[12:15], a[120:121], a[32:33], 0// 00000000667C: D3F3000C 1A024178
	v_mfma_f32_16x16x32_fp8_fp8 v[12:15], a[122:123], a[34:35], v[12:15]// 000000006684: D3F3000C 1C32457A
	v_mfma_f32_16x16x32_fp8_fp8 v[12:15], a[124:125], a[36:37], v[12:15]// 00000000668C: D3F3000C 1C32497C
	v_mfma_f32_16x16x32_fp8_fp8 v[12:15], a[126:127], a[38:39], v[12:15]// 000000006694: D3F3000C 1C324D7E
	v_fma_f32 v148, v8, v4, v148                               // 00000000669C: D1CB0094 06520908
	v_fma_f32 v149, v9, v4, v149                               // 0000000066A4: D1CB0095 06560909
	v_fma_f32 v150, v10, v4, v150                              // 0000000066AC: D1CB0096 065A090A
	v_fma_f32 v151, v11, v4, v151                              // 0000000066B4: D1CB0097 065E090B
	v_mul_f32_dpp v6, v28, v49 row_newbcast:0 row_mask:0xf bank_mask:0xf// 0000000066BC: 0A0C62FA FF01501C
	v_mfma_f32_16x16x32_fp8_fp8 v[8:11], a[112:113], a[40:41], 0// 0000000066C4: D3F30008 1A025170
	v_mfma_f32_16x16x32_fp8_fp8 v[8:11], a[114:115], a[42:43], v[8:11]// 0000000066CC: D3F30008 1C225572
	v_mfma_f32_16x16x32_fp8_fp8 v[8:11], a[116:117], a[44:45], v[8:11]// 0000000066D4: D3F30008 1C225974
	v_mfma_f32_16x16x32_fp8_fp8 v[8:11], a[118:119], a[46:47], v[8:11]// 0000000066DC: D3F30008 1C225D76
	v_fma_f32 v176, v12, v4, v176                              // 0000000066E4: D1CB00B0 06C2090C
	v_fma_f32 v177, v13, v4, v177                              // 0000000066EC: D1CB00B1 06C6090D
	v_fma_f32 v178, v14, v4, v178                              // 0000000066F4: D1CB00B2 06CA090E
	v_fma_f32 v179, v15, v4, v179                              // 0000000066FC: D1CB00B3 06CE090F
	v_mfma_f32_16x16x32_fp8_fp8 v[12:15], a[120:121], a[40:41], 0// 000000006704: D3F3000C 1A025178
	v_mfma_f32_16x16x32_fp8_fp8 v[12:15], a[122:123], a[42:43], v[12:15]// 00000000670C: D3F3000C 1C32557A
	v_mfma_f32_16x16x32_fp8_fp8 v[12:15], a[124:125], a[44:45], v[12:15]// 000000006714: D3F3000C 1C32597C
	v_mfma_f32_16x16x32_fp8_fp8 v[12:15], a[126:127], a[46:47], v[12:15]// 00000000671C: D3F3000C 1C325D7E
	v_fma_f32 v152, v8, v6, v152                               // 000000006724: D1CB0098 06620D08
	v_fma_f32 v153, v9, v6, v153                               // 00000000672C: D1CB0099 06660D09
	v_fma_f32 v154, v10, v6, v154                              // 000000006734: D1CB009A 066A0D0A
	v_fma_f32 v155, v11, v6, v155                              // 00000000673C: D1CB009B 066E0D0B
	v_mul_f32_dpp v4, v28, v50 row_newbcast:0 row_mask:0xf bank_mask:0xf// 000000006744: 0A0864FA FF01501C
	v_mfma_f32_16x16x32_fp8_fp8 v[8:11], a[112:113], a[48:49], 0// 00000000674C: D3F30008 1A026170
	s_add_u32 s60, 0x180, s80                                  // 000000006754: 803C50FF 00000180
	s_cmp_lt_u32 s60, s81                                      // 00000000675C: BF0A513C
	s_cselect_b32 s57, s57, 0                                  // 000000006760: 85398039
	s_cselect_b32 s3, s3, 0                                    // 000000006764: 85038003
	v_mfma_f32_16x16x32_fp8_fp8 v[8:11], a[114:115], a[50:51], v[8:11]// 000000006768: D3F30008 1C226572
	s_add_u32 s60, 0x100, s80                                  // 000000006770: 803C50FF 00000100
	s_cmp_lt_u32 s60, s81                                      // 000000006778: BF0A513C
	s_cselect_b32 s58, s58, 0                                  // 00000000677C: 853A803A
	v_mfma_f32_16x16x32_fp8_fp8 v[8:11], a[116:117], a[52:53], v[8:11]// 000000006780: D3F30008 1C226974
	s_add_u32 s60, 0x100, s80                                  // 000000006788: 803C50FF 00000100
	s_cmp_lt_u32 s60, s81                                      // 000000006790: BF0A513C
	s_cselect_b32 s83, s83, 0                                  // 000000006794: 85538053
	s_cselect_b32 s4, s4, 0                                    // 000000006798: 85048004
	v_mfma_f32_16x16x32_fp8_fp8 v[8:11], a[118:119], a[54:55], v[8:11]// 00000000679C: D3F30008 1C226D76
	s_add_u32 s24, s58, s24                                    // 0000000067A4: 8018183A
	s_addc_u32 s25, 0, s25                                     // 0000000067A8: 82191980
	v_fma_f32 v180, v12, v6, v180                              // 0000000067AC: D1CB00B4 06D20D0C
	v_fma_f32 v181, v13, v6, v181                              // 0000000067B4: D1CB00B5 06D60D0D
	v_fma_f32 v182, v14, v6, v182                              // 0000000067BC: D1CB00B6 06DA0D0E
	v_fma_f32 v183, v15, v6, v183                              // 0000000067C4: D1CB00B7 06DE0D0F
	v_mfma_f32_16x16x32_fp8_fp8 v[12:15], a[120:121], a[48:49], 0// 0000000067CC: D3F3000C 1A026178
	s_add_u32 s20, s57, s20                                    // 0000000067D4: 80141439
	s_addc_u32 s21, 0, s21                                     // 0000000067D8: 82151580
	s_add_u32 s28, s3, s28                                     // 0000000067DC: 801C1C03
	s_addc_u32 s29, 0, s29                                     // 0000000067E0: 821D1D80
	v_mfma_f32_16x16x32_fp8_fp8 v[12:15], a[122:123], a[50:51], v[12:15]// 0000000067E4: D3F3000C 1C32657A
	s_add_u32 s84, s83, s84                                    // 0000000067EC: 80545453
	s_addc_u32 s85, 0, s85                                     // 0000000067F0: 82555580
	v_mfma_f32_16x16x32_fp8_fp8 v[12:15], a[124:125], a[52:53], v[12:15]// 0000000067F4: D3F3000C 1C32697C
	s_add_u32 s32, s4, s32                                     // 0000000067FC: 80202004
	s_addc_u32 s33, 0, s33                                     // 000000006800: 82212180
	v_mfma_f32_16x16x32_fp8_fp8 v[12:15], a[126:127], a[54:55], v[12:15]// 000000006804: D3F3000C 1C326D7E
	v_fma_f32 v156, v8, v4, v156                               // 00000000680C: D1CB009C 06720908
	v_fma_f32 v157, v9, v4, v157                               // 000000006814: D1CB009D 06760909
	v_fma_f32 v158, v10, v4, v158                              // 00000000681C: D1CB009E 067A090A
	v_fma_f32 v159, v11, v4, v159                              // 000000006824: D1CB009F 067E090B
	v_fma_f32 v184, v12, v4, v184                              // 00000000682C: D1CB00B8 06E2090C
	v_fma_f32 v185, v13, v4, v185                              // 000000006834: D1CB00B9 06E6090D
	v_fma_f32 v186, v14, v4, v186                              // 00000000683C: D1CB00BA 06EA090E
	v_fma_f32 v187, v15, v4, v187                              // 000000006844: D1CB00BB 06EE090F
	s_addk_i32 s80, 0x80                                       // 00000000684C: B7500080
	s_cmp_lt_i32 s80, s81                                      // 000000006850: BF045150
	s_cbranch_scc0 label_1206                                  // 000000006854: BF840270
	s_waitcnt vmcnt(26) lgkmcnt(0)                             // 000000006858: BF8C407A
	v_mul_f32_dpp v4, v26, v51 row_newbcast:0 row_mask:0xf bank_mask:0xf// 00000000685C: 0A0866FA FF01501A
	v_mfma_f32_16x16x32_fp8_fp8 v[8:11], a[128:129], a[56:57], 0// 000000006864: D3F30008 1A027180
	buffer_load_dword v24, v22, s[32:35], 0 offen              // 00000000686C: E0501000 80081816
	v_mfma_f32_16x16x32_fp8_fp8 v[8:11], a[130:131], a[58:59], v[8:11]// 000000006874: D3F30008 1C227582
	buffer_load_dwordx4 a[112:115], v72, s[24:27], 0 offen     // 00000000687C: E05C1000 80867048
	v_mfma_f32_16x16x32_fp8_fp8 v[8:11], a[132:133], a[60:61], v[8:11]// 000000006884: D3F30008 1C227984
	v_mfma_f32_16x16x32_fp8_fp8 v[8:11], a[134:135], a[62:63], v[8:11]// 00000000688C: D3F30008 1C227D86
	v_mfma_f32_16x16x32_fp8_fp8 v[12:15], a[136:137], a[56:57], 0// 000000006894: D3F3000C 1A027188
	v_mfma_f32_16x16x32_fp8_fp8 v[12:15], a[138:139], a[58:59], v[12:15]// 00000000689C: D3F3000C 1C32758A
	buffer_load_dwordx4 a[116:119], v72, s[24:27], 0 offen offset:1024// 0000000068A4: E05C1400 80867448
	v_mfma_f32_16x16x32_fp8_fp8 v[12:15], a[140:141], a[60:61], v[12:15]// 0000000068AC: D3F3000C 1C32798C
	v_mfma_f32_16x16x32_fp8_fp8 v[12:15], a[142:143], a[62:63], v[12:15]// 0000000068B4: D3F3000C 1C327D8E
	v_fma_f32 v76, v8, v4, v76                                 // 0000000068BC: D1CB004C 05320908
	v_fma_f32 v77, v9, v4, v77                                 // 0000000068C4: D1CB004D 05360909
	v_fma_f32 v78, v10, v4, v78                                // 0000000068CC: D1CB004E 053A090A
	v_fma_f32 v79, v11, v4, v79                                // 0000000068D4: D1CB004F 053E090B
	v_mul_f32_dpp v6, v26, v52 row_newbcast:0 row_mask:0xf bank_mask:0xf// 0000000068DC: 0A0C68FA FF01501A
	v_mfma_f32_16x16x32_fp8_fp8 v[8:11], a[128:129], a[64:65], 0// 0000000068E4: D3F30008 1A028180
	v_mfma_f32_16x16x32_fp8_fp8 v[8:11], a[130:131], a[66:67], v[8:11]// 0000000068EC: D3F30008 1C228582
	buffer_load_dwordx4 a[120:123], v73, s[24:27], 0 offen     // 0000000068F4: E05C1000 80867849
	v_mfma_f32_16x16x32_fp8_fp8 v[8:11], a[132:133], a[68:69], v[8:11]// 0000000068FC: D3F30008 1C228984
	v_mfma_f32_16x16x32_fp8_fp8 v[8:11], a[134:135], a[70:71], v[8:11]// 000000006904: D3F30008 1C228D86
	v_fma_f32 v104, v12, v4, v104                              // 00000000690C: D1CB0068 05A2090C
	v_fma_f32 v105, v13, v4, v105                              // 000000006914: D1CB0069 05A6090D
	v_fma_f32 v106, v14, v4, v106                              // 00000000691C: D1CB006A 05AA090E
	v_fma_f32 v107, v15, v4, v107                              // 000000006924: D1CB006B 05AE090F
	v_mfma_f32_16x16x32_fp8_fp8 v[12:15], a[136:137], a[64:65], 0// 00000000692C: D3F3000C 1A028188
	v_mfma_f32_16x16x32_fp8_fp8 v[12:15], a[138:139], a[66:67], v[12:15]// 000000006934: D3F3000C 1C32858A
	buffer_load_dwordx4 a[124:127], v73, s[24:27], 0 offen offset:1024// 00000000693C: E05C1400 80867C49
	buffer_load_dword v58, s[20:23], 0 offen lds               // 000000006944: E0511000 8005003A
	s_add_u32 m0, 0x100, s49                                   // 00000000694C: 807C31FF 00000100
	v_mfma_f32_16x16x32_fp8_fp8 v[12:15], a[140:141], a[68:69], v[12:15]// 000000006954: D3F3000C 1C32898C
	v_mfma_f32_16x16x32_fp8_fp8 v[12:15], a[142:143], a[70:71], v[12:15]// 00000000695C: D3F3000C 1C328D8E
	buffer_load_dword v59, s[20:23], 0 offen lds               // 000000006964: E0511000 8005003B
	s_add_u32 m0, 0x200, s49                                   // 00000000696C: 807C31FF 00000200
	v_fma_f32 v80, v8, v6, v80                                 // 000000006974: D1CB0050 05420D08
	v_fma_f32 v81, v9, v6, v81                                 // 00000000697C: D1CB0051 05460D09
	v_fma_f32 v82, v10, v6, v82                                // 000000006984: D1CB0052 054A0D0A
	v_fma_f32 v83, v11, v6, v83                                // 00000000698C: D1CB0053 054E0D0B
	v_mul_f32_dpp v4, v26, v53 row_newbcast:0 row_mask:0xf bank_mask:0xf// 000000006994: 0A086AFA FF01501A
	v_mfma_f32_16x16x32_fp8_fp8 v[8:11], a[128:129], a[72:73], 0// 00000000699C: D3F30008 1A029180
	v_mfma_f32_16x16x32_fp8_fp8 v[8:11], a[130:131], a[74:75], v[8:11]// 0000000069A4: D3F30008 1C229582
	buffer_load_dword v60, s[20:23], 0 offen lds               // 0000000069AC: E0511000 8005003C
	s_add_u32 m0, 0x300, s49                                   // 0000000069B4: 807C31FF 00000300
	v_mfma_f32_16x16x32_fp8_fp8 v[8:11], a[132:133], a[76:77], v[8:11]// 0000000069BC: D3F30008 1C229984
	v_mfma_f32_16x16x32_fp8_fp8 v[8:11], a[134:135], a[78:79], v[8:11]// 0000000069C4: D3F30008 1C229D86
	buffer_load_dword v61, s[20:23], 0 offen lds               // 0000000069CC: E0511000 8005003D
	s_add_u32 m0, 0x400, s49                                   // 0000000069D4: 807C31FF 00000400
	v_fma_f32 v108, v12, v6, v108                              // 0000000069DC: D1CB006C 05B20D0C
	v_fma_f32 v109, v13, v6, v109                              // 0000000069E4: D1CB006D 05B60D0D
	v_fma_f32 v110, v14, v6, v110                              // 0000000069EC: D1CB006E 05BA0D0E
	v_fma_f32 v111, v15, v6, v111                              // 0000000069F4: D1CB006F 05BE0D0F
	v_mfma_f32_16x16x32_fp8_fp8 v[12:15], a[136:137], a[72:73], 0// 0000000069FC: D3F3000C 1A029188
	v_mfma_f32_16x16x32_fp8_fp8 v[12:15], a[138:139], a[74:75], v[12:15]// 000000006A04: D3F3000C 1C32958A
	buffer_load_dword v62, s[20:23], 0 offen lds               // 000000006A0C: E0511000 8005003E
	s_add_u32 m0, 0x500, s49                                   // 000000006A14: 807C31FF 00000500
	v_mfma_f32_16x16x32_fp8_fp8 v[12:15], a[140:141], a[76:77], v[12:15]// 000000006A1C: D3F3000C 1C32998C
	v_mfma_f32_16x16x32_fp8_fp8 v[12:15], a[142:143], a[78:79], v[12:15]// 000000006A24: D3F3000C 1C329D8E
	buffer_load_dword v63, s[20:23], 0 offen lds               // 000000006A2C: E0511000 8005003F
	s_add_u32 m0, 0x600, s49                                   // 000000006A34: 807C31FF 00000600
	v_fma_f32 v84, v8, v4, v84                                 // 000000006A3C: D1CB0054 05520908
	v_fma_f32 v85, v9, v4, v85                                 // 000000006A44: D1CB0055 05560909
	v_fma_f32 v86, v10, v4, v86                                // 000000006A4C: D1CB0056 055A090A
	v_fma_f32 v87, v11, v4, v87                                // 000000006A54: D1CB0057 055E090B
	v_mul_f32_dpp v6, v26, v54 row_newbcast:0 row_mask:0xf bank_mask:0xf// 000000006A5C: 0A0C6CFA FF01501A
	v_mfma_f32_16x16x32_fp8_fp8 v[8:11], a[128:129], a[80:81], 0// 000000006A64: D3F30008 1A02A180
	v_mfma_f32_16x16x32_fp8_fp8 v[8:11], a[130:131], a[82:83], v[8:11]// 000000006A6C: D3F30008 1C22A582
	buffer_load_dword v64, s[20:23], 0 offen lds               // 000000006A74: E0511000 80050040
	s_add_u32 m0, 0x700, s49                                   // 000000006A7C: 807C31FF 00000700
	v_mfma_f32_16x16x32_fp8_fp8 v[8:11], a[132:133], a[84:85], v[8:11]// 000000006A84: D3F30008 1C22A984
	v_mfma_f32_16x16x32_fp8_fp8 v[8:11], a[134:135], a[86:87], v[8:11]// 000000006A8C: D3F30008 1C22AD86
	buffer_load_dword v65, s[20:23], 0 offen lds               // 000000006A94: E0511000 80050041
	s_add_u32 m0, 0x800, s49                                   // 000000006A9C: 807C31FF 00000800
	v_fma_f32 v112, v12, v4, v112                              // 000000006AA4: D1CB0070 05C2090C
	v_fma_f32 v113, v13, v4, v113                              // 000000006AAC: D1CB0071 05C6090D
	v_fma_f32 v114, v14, v4, v114                              // 000000006AB4: D1CB0072 05CA090E
	v_fma_f32 v115, v15, v4, v115                              // 000000006ABC: D1CB0073 05CE090F
	v_mfma_f32_16x16x32_fp8_fp8 v[12:15], a[136:137], a[80:81], 0// 000000006AC4: D3F3000C 1A02A188
	v_mfma_f32_16x16x32_fp8_fp8 v[12:15], a[138:139], a[82:83], v[12:15]// 000000006ACC: D3F3000C 1C32A58A
	buffer_load_dword v66, s[20:23], 0 offen lds               // 000000006AD4: E0511000 80050042
	s_add_u32 m0, 0x900, s49                                   // 000000006ADC: 807C31FF 00000900
	v_mfma_f32_16x16x32_fp8_fp8 v[12:15], a[140:141], a[84:85], v[12:15]// 000000006AE4: D3F3000C 1C32A98C
	v_mfma_f32_16x16x32_fp8_fp8 v[12:15], a[142:143], a[86:87], v[12:15]// 000000006AEC: D3F3000C 1C32AD8E
	buffer_load_dword v67, s[20:23], 0 offen lds               // 000000006AF4: E0511000 80050043
	s_add_u32 m0, 0xa00, s49                                   // 000000006AFC: 807C31FF 00000A00
	v_fma_f32 v88, v8, v6, v88                                 // 000000006B04: D1CB0058 05620D08
	v_fma_f32 v89, v9, v6, v89                                 // 000000006B0C: D1CB0059 05660D09
	v_fma_f32 v90, v10, v6, v90                                // 000000006B14: D1CB005A 056A0D0A
	v_fma_f32 v91, v11, v6, v91                                // 000000006B1C: D1CB005B 056E0D0B
	v_mul_f32_dpp v4, v26, v55 row_newbcast:0 row_mask:0xf bank_mask:0xf// 000000006B24: 0A086EFA FF01501A
	v_mfma_f32_16x16x32_fp8_fp8 v[8:11], a[128:129], a[88:89], 0// 000000006B2C: D3F30008 1A02B180
	v_mfma_f32_16x16x32_fp8_fp8 v[8:11], a[130:131], a[90:91], v[8:11]// 000000006B34: D3F30008 1C22B582
	buffer_load_dword v68, s[20:23], 0 offen lds               // 000000006B3C: E0511000 80050044
	s_add_u32 m0, 0xb00, s49                                   // 000000006B44: 807C31FF 00000B00
	v_mfma_f32_16x16x32_fp8_fp8 v[8:11], a[132:133], a[92:93], v[8:11]// 000000006B4C: D3F30008 1C22B984
	v_mfma_f32_16x16x32_fp8_fp8 v[8:11], a[134:135], a[94:95], v[8:11]// 000000006B54: D3F30008 1C22BD86
	buffer_load_dword v69, s[20:23], 0 offen lds               // 000000006B5C: E0511000 80050045
	s_add_u32 m0, 0xc00, s49                                   // 000000006B64: 807C31FF 00000C00
	v_fma_f32 v116, v12, v6, v116                              // 000000006B6C: D1CB0074 05D20D0C
	v_fma_f32 v117, v13, v6, v117                              // 000000006B74: D1CB0075 05D60D0D
	v_fma_f32 v118, v14, v6, v118                              // 000000006B7C: D1CB0076 05DA0D0E
	v_fma_f32 v119, v15, v6, v119                              // 000000006B84: D1CB0077 05DE0D0F
	v_mfma_f32_16x16x32_fp8_fp8 v[12:15], a[136:137], a[88:89], 0// 000000006B8C: D3F3000C 1A02B188
	v_mfma_f32_16x16x32_fp8_fp8 v[12:15], a[138:139], a[90:91], v[12:15]// 000000006B94: D3F3000C 1C32B58A
	buffer_load_dword v70, s[20:23], 0 offen lds               // 000000006B9C: E0511000 80050046
	s_add_u32 m0, 0xd00, s49                                   // 000000006BA4: 807C31FF 00000D00
	v_mfma_f32_16x16x32_fp8_fp8 v[12:15], a[140:141], a[92:93], v[12:15]// 000000006BAC: D3F3000C 1C32B98C
	v_mfma_f32_16x16x32_fp8_fp8 v[12:15], a[142:143], a[94:95], v[12:15]// 000000006BB4: D3F3000C 1C32BD8E
	buffer_load_dword v71, s[20:23], 0 offen lds               // 000000006BBC: E0511000 80050047
	s_add_u32 m0, 0, s50                                       // 000000006BC4: 807C3280
	v_fma_f32 v92, v8, v4, v92                                 // 000000006BC8: D1CB005C 05720908
	v_fma_f32 v93, v9, v4, v93                                 // 000000006BD0: D1CB005D 05760909
	v_fma_f32 v94, v10, v4, v94                                // 000000006BD8: D1CB005E 057A090A
	v_fma_f32 v95, v11, v4, v95                                // 000000006BE0: D1CB005F 057E090B
	v_mul_f32_dpp v6, v26, v56 row_newbcast:0 row_mask:0xf bank_mask:0xf// 000000006BE8: 0A0C70FA FF01501A
	v_mfma_f32_16x16x32_fp8_fp8 v[8:11], a[128:129], a[96:97], 0// 000000006BF0: D3F30008 1A02C180
	v_mfma_f32_16x16x32_fp8_fp8 v[8:11], a[130:131], a[98:99], v[8:11]// 000000006BF8: D3F30008 1C22C582
	buffer_load_dword v44, v30, s[28:31], 0 offen              // 000000006C00: E0501000 80072C1E
	v_mfma_f32_16x16x32_fp8_fp8 v[8:11], a[132:133], a[100:101], v[8:11]// 000000006C08: D3F30008 1C22C984
	v_mfma_f32_16x16x32_fp8_fp8 v[8:11], a[134:135], a[102:103], v[8:11]// 000000006C10: D3F30008 1C22CD86
	buffer_load_dword v45, v31, s[28:31], 0 offen              // 000000006C18: E0501000 80072D1F
	v_fma_f32 v120, v12, v4, v120                              // 000000006C20: D1CB0078 05E2090C
	v_fma_f32 v121, v13, v4, v121                              // 000000006C28: D1CB0079 05E6090D
	v_fma_f32 v122, v14, v4, v122                              // 000000006C30: D1CB007A 05EA090E
	v_fma_f32 v123, v15, v4, v123                              // 000000006C38: D1CB007B 05EE090F
	v_mfma_f32_16x16x32_fp8_fp8 v[12:15], a[136:137], a[96:97], 0// 000000006C40: D3F3000C 1A02C188
	v_mfma_f32_16x16x32_fp8_fp8 v[12:15], a[138:139], a[98:99], v[12:15]// 000000006C48: D3F3000C 1C32C58A
	buffer_load_dword v46, v32, s[28:31], 0 offen              // 000000006C50: E0501000 80072E20
	v_mfma_f32_16x16x32_fp8_fp8 v[12:15], a[140:141], a[100:101], v[12:15]// 000000006C58: D3F3000C 1C32C98C
	v_mfma_f32_16x16x32_fp8_fp8 v[12:15], a[142:143], a[102:103], v[12:15]// 000000006C60: D3F3000C 1C32CD8E
	buffer_load_dword v47, v33, s[28:31], 0 offen              // 000000006C68: E0501000 80072F21
	v_fma_f32 v96, v8, v6, v96                                 // 000000006C70: D1CB0060 05820D08
	v_fma_f32 v97, v9, v6, v97                                 // 000000006C78: D1CB0061 05860D09
	v_fma_f32 v98, v10, v6, v98                                // 000000006C80: D1CB0062 058A0D0A
	v_fma_f32 v99, v11, v6, v99                                // 000000006C88: D1CB0063 058E0D0B
	v_mul_f32_dpp v4, v26, v57 row_newbcast:0 row_mask:0xf bank_mask:0xf// 000000006C90: 0A0872FA FF01501A
	v_mfma_f32_16x16x32_fp8_fp8 v[8:11], a[128:129], a[104:105], 0// 000000006C98: D3F30008 1A02D180
	v_mfma_f32_16x16x32_fp8_fp8 v[8:11], a[130:131], a[106:107], v[8:11]// 000000006CA0: D3F30008 1C22D582
	buffer_load_dword v48, v34, s[28:31], 0 offen              // 000000006CA8: E0501000 80073022
	v_mfma_f32_16x16x32_fp8_fp8 v[8:11], a[132:133], a[108:109], v[8:11]// 000000006CB0: D3F30008 1C22D984
	v_mfma_f32_16x16x32_fp8_fp8 v[8:11], a[134:135], a[110:111], v[8:11]// 000000006CB8: D3F30008 1C22DD86
	buffer_load_dword v49, v35, s[28:31], 0 offen              // 000000006CC0: E0501000 80073123
	v_fma_f32 v124, v12, v6, v124                              // 000000006CC8: D1CB007C 05F20D0C
	v_fma_f32 v125, v13, v6, v125                              // 000000006CD0: D1CB007D 05F60D0D
	v_fma_f32 v126, v14, v6, v126                              // 000000006CD8: D1CB007E 05FA0D0E
	v_fma_f32 v127, v15, v6, v127                              // 000000006CE0: D1CB007F 05FE0D0F
	v_mfma_f32_16x16x32_fp8_fp8 v[12:15], a[136:137], a[104:105], 0// 000000006CE8: D3F3000C 1A02D188
	v_mfma_f32_16x16x32_fp8_fp8 v[12:15], a[138:139], a[106:107], v[12:15]// 000000006CF0: D3F3000C 1C32D58A
	buffer_load_dword v50, v36, s[28:31], 0 offen              // 000000006CF8: E0501000 80073224
	v_mfma_f32_16x16x32_fp8_fp8 v[12:15], a[140:141], a[108:109], v[12:15]// 000000006D00: D3F3000C 1C32D98C
	v_mfma_f32_16x16x32_fp8_fp8 v[12:15], a[142:143], a[110:111], v[12:15]// 000000006D08: D3F3000C 1C32DD8E
	v_fma_f32 v100, v8, v4, v100                               // 000000006D10: D1CB0064 05920908
	v_fma_f32 v101, v9, v4, v101                               // 000000006D18: D1CB0065 05960909
	v_fma_f32 v102, v10, v4, v102                              // 000000006D20: D1CB0066 059A090A
	v_fma_f32 v103, v11, v4, v103                              // 000000006D28: D1CB0067 059E090B
	v_fma_f32 v128, v12, v4, v128                              // 000000006D30: D1CB0080 0602090C
	v_fma_f32 v129, v13, v4, v129                              // 000000006D38: D1CB0081 0606090D
	v_fma_f32 v130, v14, v4, v130                              // 000000006D40: D1CB0082 060A090E
	v_fma_f32 v131, v15, v4, v131                              // 000000006D48: D1CB0083 060E090F
	s_waitcnt vmcnt(26)                                        // 000000006D50: BF8C4F7A
	s_barrier                                                  // 000000006D54: BF8A0000
	v_mul_f32_dpp v4, v29, v51 row_newbcast:0 row_mask:0xf bank_mask:0xf// 000000006D58: 0A0866FA FF01501D
	v_mfma_f32_16x16x32_fp8_fp8 v[8:11], a[144:145], a[56:57], 0// 000000006D60: D3F30008 1A027190
	buffer_load_dword v27, v23, s[32:35], 0 offen              // 000000006D68: E0501000 80081B17
	v_mfma_f32_16x16x32_fp8_fp8 v[8:11], a[146:147], a[58:59], v[8:11]// 000000006D70: D3F30008 1C227592
	buffer_load_dwordx4 a[128:131], v72, s[84:87], 0 offen     // 000000006D78: E05C1000 80958048
	v_mfma_f32_16x16x32_fp8_fp8 v[8:11], a[148:149], a[60:61], v[8:11]// 000000006D80: D3F30008 1C227994
	v_mfma_f32_16x16x32_fp8_fp8 v[8:11], a[150:151], a[62:63], v[8:11]// 000000006D88: D3F30008 1C227D96
	ds_read_b128 a[0:3], v2                                    // 000000006D90: DBFE0000 00000002
	ds_read_b128 a[4:7], v2 offset:64                          // 000000006D98: DBFE0040 04000002
	v_mfma_f32_16x16x32_fp8_fp8 v[12:15], a[152:153], a[56:57], 0// 000000006DA0: D3F3000C 1A027198
	v_mfma_f32_16x16x32_fp8_fp8 v[12:15], a[154:155], a[58:59], v[12:15]// 000000006DA8: D3F3000C 1C32759A
	buffer_load_dwordx4 a[132:135], v72, s[84:87], 0 offen offset:1024// 000000006DB0: E05C1400 80958448
	v_mfma_f32_16x16x32_fp8_fp8 v[12:15], a[156:157], a[60:61], v[12:15]// 000000006DB8: D3F3000C 1C32799C
	v_mfma_f32_16x16x32_fp8_fp8 v[12:15], a[158:159], a[62:63], v[12:15]// 000000006DC0: D3F3000C 1C327D9E
	ds_read_b128 a[8:11], v2 offset:512                        // 000000006DC8: DBFE0200 08000002
	ds_read_b128 a[12:15], v2 offset:576                       // 000000006DD0: DBFE0240 0C000002
	v_fma_f32 v132, v8, v4, v132                               // 000000006DD8: D1CB0084 06120908
	v_fma_f32 v133, v9, v4, v133                               // 000000006DE0: D1CB0085 06160909
	v_fma_f32 v134, v10, v4, v134                              // 000000006DE8: D1CB0086 061A090A
	v_fma_f32 v135, v11, v4, v135                              // 000000006DF0: D1CB0087 061E090B
	v_mul_f32_dpp v6, v29, v52 row_newbcast:0 row_mask:0xf bank_mask:0xf// 000000006DF8: 0A0C68FA FF01501D
	v_mfma_f32_16x16x32_fp8_fp8 v[8:11], a[144:145], a[64:65], 0// 000000006E00: D3F30008 1A028190
	v_mfma_f32_16x16x32_fp8_fp8 v[8:11], a[146:147], a[66:67], v[8:11]// 000000006E08: D3F30008 1C228592
	buffer_load_dwordx4 a[136:139], v73, s[84:87], 0 offen     // 000000006E10: E05C1000 80958849
	v_mfma_f32_16x16x32_fp8_fp8 v[8:11], a[148:149], a[68:69], v[8:11]// 000000006E18: D3F30008 1C228994
	v_mfma_f32_16x16x32_fp8_fp8 v[8:11], a[150:151], a[70:71], v[8:11]// 000000006E20: D3F30008 1C228D96
	ds_read_b128 a[16:19], v2 offset:1024                      // 000000006E28: DBFE0400 10000002
	ds_read_b128 a[20:23], v2 offset:1088                      // 000000006E30: DBFE0440 14000002
	v_fma_f32 v160, v12, v4, v160                              // 000000006E38: D1CB00A0 0682090C
	v_fma_f32 v161, v13, v4, v161                              // 000000006E40: D1CB00A1 0686090D
	v_fma_f32 v162, v14, v4, v162                              // 000000006E48: D1CB00A2 068A090E
	v_fma_f32 v163, v15, v4, v163                              // 000000006E50: D1CB00A3 068E090F
	v_mfma_f32_16x16x32_fp8_fp8 v[12:15], a[152:153], a[64:65], 0// 000000006E58: D3F3000C 1A028198
	v_mfma_f32_16x16x32_fp8_fp8 v[12:15], a[154:155], a[66:67], v[12:15]// 000000006E60: D3F3000C 1C32859A
	buffer_load_dwordx4 a[140:143], v73, s[84:87], 0 offen offset:1024// 000000006E68: E05C1400 80958C49
	v_mfma_f32_16x16x32_fp8_fp8 v[12:15], a[156:157], a[68:69], v[12:15]// 000000006E70: D3F3000C 1C32899C
	v_mfma_f32_16x16x32_fp8_fp8 v[12:15], a[158:159], a[70:71], v[12:15]// 000000006E78: D3F3000C 1C328D9E
	ds_read_b128 a[24:27], v2 offset:1536                      // 000000006E80: DBFE0600 18000002
	ds_read_b128 a[28:31], v2 offset:1600                      // 000000006E88: DBFE0640 1C000002
	v_fma_f32 v136, v8, v6, v136                               // 000000006E90: D1CB0088 06220D08
	v_fma_f32 v137, v9, v6, v137                               // 000000006E98: D1CB0089 06260D09
	v_fma_f32 v138, v10, v6, v138                              // 000000006EA0: D1CB008A 062A0D0A
	v_fma_f32 v139, v11, v6, v139                              // 000000006EA8: D1CB008B 062E0D0B
	v_mul_f32_dpp v4, v29, v53 row_newbcast:0 row_mask:0xf bank_mask:0xf// 000000006EB0: 0A086AFA FF01501D
	v_mfma_f32_16x16x32_fp8_fp8 v[8:11], a[144:145], a[72:73], 0// 000000006EB8: D3F30008 1A029190
	v_mfma_f32_16x16x32_fp8_fp8 v[8:11], a[146:147], a[74:75], v[8:11]// 000000006EC0: D3F30008 1C229592
	v_mfma_f32_16x16x32_fp8_fp8 v[8:11], a[148:149], a[76:77], v[8:11]// 000000006EC8: D3F30008 1C229994
	v_mfma_f32_16x16x32_fp8_fp8 v[8:11], a[150:151], a[78:79], v[8:11]// 000000006ED0: D3F30008 1C229D96
	ds_read_b128 a[32:35], v2 offset:2048                      // 000000006ED8: DBFE0800 20000002
	ds_read_b128 a[36:39], v2 offset:2112                      // 000000006EE0: DBFE0840 24000002
	v_fma_f32 v164, v12, v6, v164                              // 000000006EE8: D1CB00A4 06920D0C
	v_fma_f32 v165, v13, v6, v165                              // 000000006EF0: D1CB00A5 06960D0D
	v_fma_f32 v166, v14, v6, v166                              // 000000006EF8: D1CB00A6 069A0D0E
	v_fma_f32 v167, v15, v6, v167                              // 000000006F00: D1CB00A7 069E0D0F
	v_mfma_f32_16x16x32_fp8_fp8 v[12:15], a[152:153], a[72:73], 0// 000000006F08: D3F3000C 1A029198
	v_mfma_f32_16x16x32_fp8_fp8 v[12:15], a[154:155], a[74:75], v[12:15]// 000000006F10: D3F3000C 1C32959A
	v_mfma_f32_16x16x32_fp8_fp8 v[12:15], a[156:157], a[76:77], v[12:15]// 000000006F18: D3F3000C 1C32999C
	v_mfma_f32_16x16x32_fp8_fp8 v[12:15], a[158:159], a[78:79], v[12:15]// 000000006F20: D3F3000C 1C329D9E
	ds_read_b128 a[40:43], v2 offset:2560                      // 000000006F28: DBFE0A00 28000002
	ds_read_b128 a[44:47], v2 offset:2624                      // 000000006F30: DBFE0A40 2C000002
	v_fma_f32 v140, v8, v4, v140                               // 000000006F38: D1CB008C 06320908
	v_fma_f32 v141, v9, v4, v141                               // 000000006F40: D1CB008D 06360909
	v_fma_f32 v142, v10, v4, v142                              // 000000006F48: D1CB008E 063A090A
	v_fma_f32 v143, v11, v4, v143                              // 000000006F50: D1CB008F 063E090B
	v_mul_f32_dpp v6, v29, v54 row_newbcast:0 row_mask:0xf bank_mask:0xf// 000000006F58: 0A0C6CFA FF01501D
	v_mfma_f32_16x16x32_fp8_fp8 v[8:11], a[144:145], a[80:81], 0// 000000006F60: D3F30008 1A02A190
	v_mfma_f32_16x16x32_fp8_fp8 v[8:11], a[146:147], a[82:83], v[8:11]// 000000006F68: D3F30008 1C22A592
	v_mfma_f32_16x16x32_fp8_fp8 v[8:11], a[148:149], a[84:85], v[8:11]// 000000006F70: D3F30008 1C22A994
	v_mfma_f32_16x16x32_fp8_fp8 v[8:11], a[150:151], a[86:87], v[8:11]// 000000006F78: D3F30008 1C22AD96
	ds_read_b128 a[48:51], v2 offset:3072                      // 000000006F80: DBFE0C00 30000002
	ds_read_b128 a[52:55], v2 offset:3136                      // 000000006F88: DBFE0C40 34000002
	v_fma_f32 v168, v12, v4, v168                              // 000000006F90: D1CB00A8 06A2090C
	v_fma_f32 v169, v13, v4, v169                              // 000000006F98: D1CB00A9 06A6090D
	v_fma_f32 v170, v14, v4, v170                              // 000000006FA0: D1CB00AA 06AA090E
	v_fma_f32 v171, v15, v4, v171                              // 000000006FA8: D1CB00AB 06AE090F
	v_mfma_f32_16x16x32_fp8_fp8 v[12:15], a[152:153], a[80:81], 0// 000000006FB0: D3F3000C 1A02A198
	v_mfma_f32_16x16x32_fp8_fp8 v[12:15], a[154:155], a[82:83], v[12:15]// 000000006FB8: D3F3000C 1C32A59A
	v_mfma_f32_16x16x32_fp8_fp8 v[12:15], a[156:157], a[84:85], v[12:15]// 000000006FC0: D3F3000C 1C32A99C
	v_mfma_f32_16x16x32_fp8_fp8 v[12:15], a[158:159], a[86:87], v[12:15]// 000000006FC8: D3F3000C 1C32AD9E
	v_fma_f32 v144, v8, v6, v144                               // 000000006FD0: D1CB0090 06420D08
	v_fma_f32 v145, v9, v6, v145                               // 000000006FD8: D1CB0091 06460D09
	v_fma_f32 v146, v10, v6, v146                              // 000000006FE0: D1CB0092 064A0D0A
	v_fma_f32 v147, v11, v6, v147                              // 000000006FE8: D1CB0093 064E0D0B
	v_mul_f32_dpp v4, v29, v55 row_newbcast:0 row_mask:0xf bank_mask:0xf// 000000006FF0: 0A086EFA FF01501D
	v_mfma_f32_16x16x32_fp8_fp8 v[8:11], a[144:145], a[88:89], 0// 000000006FF8: D3F30008 1A02B190
	v_mfma_f32_16x16x32_fp8_fp8 v[8:11], a[146:147], a[90:91], v[8:11]// 000000007000: D3F30008 1C22B592
	v_mfma_f32_16x16x32_fp8_fp8 v[8:11], a[148:149], a[92:93], v[8:11]// 000000007008: D3F30008 1C22B994
	v_mfma_f32_16x16x32_fp8_fp8 v[8:11], a[150:151], a[94:95], v[8:11]// 000000007010: D3F30008 1C22BD96
	v_fma_f32 v172, v12, v6, v172                              // 000000007018: D1CB00AC 06B20D0C
	v_fma_f32 v173, v13, v6, v173                              // 000000007020: D1CB00AD 06B60D0D
	v_fma_f32 v174, v14, v6, v174                              // 000000007028: D1CB00AE 06BA0D0E
	v_fma_f32 v175, v15, v6, v175                              // 000000007030: D1CB00AF 06BE0D0F
	v_mfma_f32_16x16x32_fp8_fp8 v[12:15], a[152:153], a[88:89], 0// 000000007038: D3F3000C 1A02B198
	v_mfma_f32_16x16x32_fp8_fp8 v[12:15], a[154:155], a[90:91], v[12:15]// 000000007040: D3F3000C 1C32B59A
	v_mfma_f32_16x16x32_fp8_fp8 v[12:15], a[156:157], a[92:93], v[12:15]// 000000007048: D3F3000C 1C32B99C
	v_mfma_f32_16x16x32_fp8_fp8 v[12:15], a[158:159], a[94:95], v[12:15]// 000000007050: D3F3000C 1C32BD9E
	v_fma_f32 v148, v8, v4, v148                               // 000000007058: D1CB0094 06520908
	v_fma_f32 v149, v9, v4, v149                               // 000000007060: D1CB0095 06560909
	v_fma_f32 v150, v10, v4, v150                              // 000000007068: D1CB0096 065A090A
	v_fma_f32 v151, v11, v4, v151                              // 000000007070: D1CB0097 065E090B
	v_mul_f32_dpp v6, v29, v56 row_newbcast:0 row_mask:0xf bank_mask:0xf// 000000007078: 0A0C70FA FF01501D
	v_mfma_f32_16x16x32_fp8_fp8 v[8:11], a[144:145], a[96:97], 0// 000000007080: D3F30008 1A02C190
	v_mfma_f32_16x16x32_fp8_fp8 v[8:11], a[146:147], a[98:99], v[8:11]// 000000007088: D3F30008 1C22C592
	v_mfma_f32_16x16x32_fp8_fp8 v[8:11], a[148:149], a[100:101], v[8:11]// 000000007090: D3F30008 1C22C994
	v_mfma_f32_16x16x32_fp8_fp8 v[8:11], a[150:151], a[102:103], v[8:11]// 000000007098: D3F30008 1C22CD96
	v_fma_f32 v176, v12, v4, v176                              // 0000000070A0: D1CB00B0 06C2090C
	v_fma_f32 v177, v13, v4, v177                              // 0000000070A8: D1CB00B1 06C6090D
	v_fma_f32 v178, v14, v4, v178                              // 0000000070B0: D1CB00B2 06CA090E
	v_fma_f32 v179, v15, v4, v179                              // 0000000070B8: D1CB00B3 06CE090F
	v_mfma_f32_16x16x32_fp8_fp8 v[12:15], a[152:153], a[96:97], 0// 0000000070C0: D3F3000C 1A02C198
	v_mfma_f32_16x16x32_fp8_fp8 v[12:15], a[154:155], a[98:99], v[12:15]// 0000000070C8: D3F3000C 1C32C59A
	v_mfma_f32_16x16x32_fp8_fp8 v[12:15], a[156:157], a[100:101], v[12:15]// 0000000070D0: D3F3000C 1C32C99C
	v_mfma_f32_16x16x32_fp8_fp8 v[12:15], a[158:159], a[102:103], v[12:15]// 0000000070D8: D3F3000C 1C32CD9E
	v_fma_f32 v152, v8, v6, v152                               // 0000000070E0: D1CB0098 06620D08
	v_fma_f32 v153, v9, v6, v153                               // 0000000070E8: D1CB0099 06660D09
	v_fma_f32 v154, v10, v6, v154                              // 0000000070F0: D1CB009A 066A0D0A
	v_fma_f32 v155, v11, v6, v155                              // 0000000070F8: D1CB009B 066E0D0B
	v_mul_f32_dpp v4, v29, v57 row_newbcast:0 row_mask:0xf bank_mask:0xf// 000000007100: 0A0872FA FF01501D
	v_mfma_f32_16x16x32_fp8_fp8 v[8:11], a[144:145], a[104:105], 0// 000000007108: D3F30008 1A02D190
	s_add_u32 s60, 0x180, s80                                  // 000000007110: 803C50FF 00000180
	s_cmp_lt_u32 s60, s81                                      // 000000007118: BF0A513C
	s_cselect_b32 s57, s57, 0                                  // 00000000711C: 85398039
	s_cselect_b32 s3, s3, 0                                    // 000000007120: 85038003
	v_mfma_f32_16x16x32_fp8_fp8 v[8:11], a[146:147], a[106:107], v[8:11]// 000000007124: D3F30008 1C22D592
	s_add_u32 s60, 0x100, s80                                  // 00000000712C: 803C50FF 00000100
	s_cmp_lt_u32 s60, s81                                      // 000000007134: BF0A513C
	s_cselect_b32 s58, s58, 0                                  // 000000007138: 853A803A
	v_mfma_f32_16x16x32_fp8_fp8 v[8:11], a[148:149], a[108:109], v[8:11]// 00000000713C: D3F30008 1C22D994
	s_add_u32 s60, 0x100, s80                                  // 000000007144: 803C50FF 00000100
	s_cmp_lt_u32 s60, s81                                      // 00000000714C: BF0A513C
	s_cselect_b32 s83, s83, 0                                  // 000000007150: 85538053
	s_cselect_b32 s4, s4, 0                                    // 000000007154: 85048004
	v_mfma_f32_16x16x32_fp8_fp8 v[8:11], a[150:151], a[110:111], v[8:11]// 000000007158: D3F30008 1C22DD96
	s_add_u32 s24, s58, s24                                    // 000000007160: 8018183A
	s_addc_u32 s25, 0, s25                                     // 000000007164: 82191980
	v_fma_f32 v180, v12, v6, v180                              // 000000007168: D1CB00B4 06D20D0C
	v_fma_f32 v181, v13, v6, v181                              // 000000007170: D1CB00B5 06D60D0D
	v_fma_f32 v182, v14, v6, v182                              // 000000007178: D1CB00B6 06DA0D0E
	v_fma_f32 v183, v15, v6, v183                              // 000000007180: D1CB00B7 06DE0D0F
	v_mfma_f32_16x16x32_fp8_fp8 v[12:15], a[152:153], a[104:105], 0// 000000007188: D3F3000C 1A02D198
	s_add_u32 s20, s57, s20                                    // 000000007190: 80141439
	s_addc_u32 s21, 0, s21                                     // 000000007194: 82151580
	s_add_u32 s28, s3, s28                                     // 000000007198: 801C1C03
	s_addc_u32 s29, 0, s29                                     // 00000000719C: 821D1D80
	v_mfma_f32_16x16x32_fp8_fp8 v[12:15], a[154:155], a[106:107], v[12:15]// 0000000071A0: D3F3000C 1C32D59A
	s_add_u32 s84, s83, s84                                    // 0000000071A8: 80545453
	s_addc_u32 s85, 0, s85                                     // 0000000071AC: 82555580
	v_mfma_f32_16x16x32_fp8_fp8 v[12:15], a[156:157], a[108:109], v[12:15]// 0000000071B0: D3F3000C 1C32D99C
	s_add_u32 s32, s4, s32                                     // 0000000071B8: 80202004
	s_addc_u32 s33, 0, s33                                     // 0000000071BC: 82212180
	v_mfma_f32_16x16x32_fp8_fp8 v[12:15], a[158:159], a[110:111], v[12:15]// 0000000071C0: D3F3000C 1C32DD9E
	v_fma_f32 v156, v8, v4, v156                               // 0000000071C8: D1CB009C 06720908
	v_fma_f32 v157, v9, v4, v157                               // 0000000071D0: D1CB009D 06760909
	v_fma_f32 v158, v10, v4, v158                              // 0000000071D8: D1CB009E 067A090A
	v_fma_f32 v159, v11, v4, v159                              // 0000000071E0: D1CB009F 067E090B
	v_fma_f32 v184, v12, v4, v184                              // 0000000071E8: D1CB00B8 06E2090C
	v_fma_f32 v185, v13, v4, v185                              // 0000000071F0: D1CB00B9 06E6090D
	v_fma_f32 v186, v14, v4, v186                              // 0000000071F8: D1CB00BA 06EA090E
	v_fma_f32 v187, v15, v4, v187                              // 000000007200: D1CB00BB 06EE090F
	s_addk_i32 s80, 0x80                                       // 000000007208: B7500080
	s_cmp_lt_i32 s80, s81                                      // 00000000720C: BF045150
	s_cbranch_scc0 label_1206                                  // 000000007210: BF840001
	s_branch label_036B                                        // 000000007214: BF82F165

0000000000007218 <label_1206>:
	s_cmp_eq_u32 s88, 0                                        // 000000007218: BF068058
	s_cbranch_scc0 label_1B6E                                  // 00000000721C: BF840966
	s_cmp_eq_u32 s89, 0                                        // 000000007220: BF068059
	s_cbranch_scc1 label_143F                                  // 000000007224: BF850235
	v_mov_b32_e32 v8, v1                                       // 000000007228: 7E100301
	v_mov_b32_e32 v9, v1                                       // 00000000722C: 7E120301
	s_mov_b32 s60, s6                                          // 000000007230: BEBC0006
	s_mov_b32 s61, s6                                          // 000000007234: BEBD0006
	v_pk_mul_f32 v[4:5], v[76:77], v[76:77]                    // 000000007238: D3B14004 1802994C
	v_pk_mul_f32 v[6:7], v[78:79], v[78:79]                    // 000000007240: D3B14006 18029D4E
	v_pk_fma_f32 v[4:5], v[4:5], s[78:79], v[8:9]              // 000000007248: D3B04004 1C209D04
	v_pk_fma_f32 v[6:7], v[6:7], s[78:79], v[8:9]              // 000000007250: D3B04006 1C209D06
	v_pk_mul_f32 v[4:5], v[4:5], v[76:77]                      // 000000007258: D3B14004 18029904
	v_pk_mul_f32 v[6:7], v[6:7], v[78:79]                      // 000000007260: D3B14006 18029D06
	v_pk_mul_f32 v[4:5], v[4:5], s[60:61]                      // 000000007268: D3B14004 18007904
	v_pk_mul_f32 v[6:7], v[6:7], s[60:61]                      // 000000007270: D3B14006 18007906
	v_exp_f32_e32 v4, v4                                       // 000000007278: 7E084104
	v_exp_f32_e32 v5, v5                                       // 00000000727C: 7E0A4105
	v_exp_f32_e32 v6, v6                                       // 000000007280: 7E0C4106
	v_exp_f32_e32 v7, v7                                       // 000000007284: 7E0E4107
	v_add_f32_e64 v4, v4, 1.0                                  // 000000007288: D1010004 0001E504
	v_add_f32_e64 v5, v5, 1.0                                  // 000000007290: D1010005 0001E505
	v_add_f32_e64 v6, v6, 1.0                                  // 000000007298: D1010006 0001E506
	v_add_f32_e64 v7, v7, 1.0                                  // 0000000072A0: D1010007 0001E507
	v_rcp_f32_e32 v4, v4                                       // 0000000072A8: 7E084504
	v_rcp_f32_e32 v5, v5                                       // 0000000072AC: 7E0A4505
	v_rcp_f32_e32 v6, v6                                       // 0000000072B0: 7E0C4506
	v_rcp_f32_e32 v7, v7                                       // 0000000072B4: 7E0E4507
	v_mul_f32_e32 v76, v76, v4                                 // 0000000072B8: 0A98094C
	v_mul_f32_e32 v77, v77, v5                                 // 0000000072BC: 0A9A0B4D
	v_mul_f32_e32 v78, v78, v6                                 // 0000000072C0: 0A9C0D4E
	v_mul_f32_e32 v79, v79, v7                                 // 0000000072C4: 0A9E0F4F
	v_mul_f32_e32 v76, v76, v132                               // 0000000072C8: 0A99094C
	v_mul_f32_e32 v77, v77, v133                               // 0000000072CC: 0A9B0B4D
	v_mul_f32_e32 v78, v78, v134                               // 0000000072D0: 0A9D0D4E
	v_mul_f32_e32 v79, v79, v135                               // 0000000072D4: 0A9F0F4F
	v_pk_mul_f32 v[4:5], v[80:81], v[80:81]                    // 0000000072D8: D3B14004 1802A150
	v_pk_mul_f32 v[6:7], v[82:83], v[82:83]                    // 0000000072E0: D3B14006 1802A552
	v_pk_fma_f32 v[4:5], v[4:5], s[78:79], v[8:9]              // 0000000072E8: D3B04004 1C209D04
	v_pk_fma_f32 v[6:7], v[6:7], s[78:79], v[8:9]              // 0000000072F0: D3B04006 1C209D06
	v_pk_mul_f32 v[4:5], v[4:5], v[80:81]                      // 0000000072F8: D3B14004 1802A104
	v_pk_mul_f32 v[6:7], v[6:7], v[82:83]                      // 000000007300: D3B14006 1802A506
	v_pk_mul_f32 v[4:5], v[4:5], s[60:61]                      // 000000007308: D3B14004 18007904
	v_pk_mul_f32 v[6:7], v[6:7], s[60:61]                      // 000000007310: D3B14006 18007906
	v_exp_f32_e32 v4, v4                                       // 000000007318: 7E084104
	v_exp_f32_e32 v5, v5                                       // 00000000731C: 7E0A4105
	v_exp_f32_e32 v6, v6                                       // 000000007320: 7E0C4106
	v_exp_f32_e32 v7, v7                                       // 000000007324: 7E0E4107
	v_add_f32_e64 v4, v4, 1.0                                  // 000000007328: D1010004 0001E504
	v_add_f32_e64 v5, v5, 1.0                                  // 000000007330: D1010005 0001E505
	v_add_f32_e64 v6, v6, 1.0                                  // 000000007338: D1010006 0001E506
	v_add_f32_e64 v7, v7, 1.0                                  // 000000007340: D1010007 0001E507
	v_rcp_f32_e32 v4, v4                                       // 000000007348: 7E084504
	v_rcp_f32_e32 v5, v5                                       // 00000000734C: 7E0A4505
	v_rcp_f32_e32 v6, v6                                       // 000000007350: 7E0C4506
	v_rcp_f32_e32 v7, v7                                       // 000000007354: 7E0E4507
	v_mul_f32_e32 v80, v80, v4                                 // 000000007358: 0AA00950
	v_mul_f32_e32 v81, v81, v5                                 // 00000000735C: 0AA20B51
	v_mul_f32_e32 v82, v82, v6                                 // 000000007360: 0AA40D52
	v_mul_f32_e32 v83, v83, v7                                 // 000000007364: 0AA60F53
	v_mul_f32_e32 v80, v80, v136                               // 000000007368: 0AA11150
	v_mul_f32_e32 v81, v81, v137                               // 00000000736C: 0AA31351
	v_mul_f32_e32 v82, v82, v138                               // 000000007370: 0AA51552
	v_mul_f32_e32 v83, v83, v139                               // 000000007374: 0AA71753
	v_pk_mul_f32 v[4:5], v[84:85], v[84:85]                    // 000000007378: D3B14004 1802A954
	v_pk_mul_f32 v[6:7], v[86:87], v[86:87]                    // 000000007380: D3B14006 1802AD56
	v_pk_fma_f32 v[4:5], v[4:5], s[78:79], v[8:9]              // 000000007388: D3B04004 1C209D04
	v_pk_fma_f32 v[6:7], v[6:7], s[78:79], v[8:9]              // 000000007390: D3B04006 1C209D06
	v_pk_mul_f32 v[4:5], v[4:5], v[84:85]                      // 000000007398: D3B14004 1802A904
	v_pk_mul_f32 v[6:7], v[6:7], v[86:87]                      // 0000000073A0: D3B14006 1802AD06
	v_pk_mul_f32 v[4:5], v[4:5], s[60:61]                      // 0000000073A8: D3B14004 18007904
	v_pk_mul_f32 v[6:7], v[6:7], s[60:61]                      // 0000000073B0: D3B14006 18007906
	v_exp_f32_e32 v4, v4                                       // 0000000073B8: 7E084104
	v_exp_f32_e32 v5, v5                                       // 0000000073BC: 7E0A4105
	v_exp_f32_e32 v6, v6                                       // 0000000073C0: 7E0C4106
	v_exp_f32_e32 v7, v7                                       // 0000000073C4: 7E0E4107
	v_add_f32_e64 v4, v4, 1.0                                  // 0000000073C8: D1010004 0001E504
	v_add_f32_e64 v5, v5, 1.0                                  // 0000000073D0: D1010005 0001E505
	v_add_f32_e64 v6, v6, 1.0                                  // 0000000073D8: D1010006 0001E506
	v_add_f32_e64 v7, v7, 1.0                                  // 0000000073E0: D1010007 0001E507
	v_rcp_f32_e32 v4, v4                                       // 0000000073E8: 7E084504
	v_rcp_f32_e32 v5, v5                                       // 0000000073EC: 7E0A4505
	v_rcp_f32_e32 v6, v6                                       // 0000000073F0: 7E0C4506
	v_rcp_f32_e32 v7, v7                                       // 0000000073F4: 7E0E4507
	v_mul_f32_e32 v84, v84, v4                                 // 0000000073F8: 0AA80954
	v_mul_f32_e32 v85, v85, v5                                 // 0000000073FC: 0AAA0B55
	v_mul_f32_e32 v86, v86, v6                                 // 000000007400: 0AAC0D56
	v_mul_f32_e32 v87, v87, v7                                 // 000000007404: 0AAE0F57
	v_mul_f32_e32 v84, v84, v140                               // 000000007408: 0AA91954
	v_mul_f32_e32 v85, v85, v141                               // 00000000740C: 0AAB1B55
	v_mul_f32_e32 v86, v86, v142                               // 000000007410: 0AAD1D56
	v_mul_f32_e32 v87, v87, v143                               // 000000007414: 0AAF1F57
	v_pk_mul_f32 v[4:5], v[88:89], v[88:89]                    // 000000007418: D3B14004 1802B158
	v_pk_mul_f32 v[6:7], v[90:91], v[90:91]                    // 000000007420: D3B14006 1802B55A
	v_pk_fma_f32 v[4:5], v[4:5], s[78:79], v[8:9]              // 000000007428: D3B04004 1C209D04
	v_pk_fma_f32 v[6:7], v[6:7], s[78:79], v[8:9]              // 000000007430: D3B04006 1C209D06
	v_pk_mul_f32 v[4:5], v[4:5], v[88:89]                      // 000000007438: D3B14004 1802B104
	v_pk_mul_f32 v[6:7], v[6:7], v[90:91]                      // 000000007440: D3B14006 1802B506
	v_pk_mul_f32 v[4:5], v[4:5], s[60:61]                      // 000000007448: D3B14004 18007904
	v_pk_mul_f32 v[6:7], v[6:7], s[60:61]                      // 000000007450: D3B14006 18007906
	v_exp_f32_e32 v4, v4                                       // 000000007458: 7E084104
	v_exp_f32_e32 v5, v5                                       // 00000000745C: 7E0A4105
	v_exp_f32_e32 v6, v6                                       // 000000007460: 7E0C4106
	v_exp_f32_e32 v7, v7                                       // 000000007464: 7E0E4107
	v_add_f32_e64 v4, v4, 1.0                                  // 000000007468: D1010004 0001E504
	v_add_f32_e64 v5, v5, 1.0                                  // 000000007470: D1010005 0001E505
	v_add_f32_e64 v6, v6, 1.0                                  // 000000007478: D1010006 0001E506
	v_add_f32_e64 v7, v7, 1.0                                  // 000000007480: D1010007 0001E507
	v_rcp_f32_e32 v4, v4                                       // 000000007488: 7E084504
	v_rcp_f32_e32 v5, v5                                       // 00000000748C: 7E0A4505
	v_rcp_f32_e32 v6, v6                                       // 000000007490: 7E0C4506
	v_rcp_f32_e32 v7, v7                                       // 000000007494: 7E0E4507
	v_mul_f32_e32 v88, v88, v4                                 // 000000007498: 0AB00958
	v_mul_f32_e32 v89, v89, v5                                 // 00000000749C: 0AB20B59
	v_mul_f32_e32 v90, v90, v6                                 // 0000000074A0: 0AB40D5A
	v_mul_f32_e32 v91, v91, v7                                 // 0000000074A4: 0AB60F5B
	v_mul_f32_e32 v88, v88, v144                               // 0000000074A8: 0AB12158
	v_mul_f32_e32 v89, v89, v145                               // 0000000074AC: 0AB32359
	v_mul_f32_e32 v90, v90, v146                               // 0000000074B0: 0AB5255A
	v_mul_f32_e32 v91, v91, v147                               // 0000000074B4: 0AB7275B
	v_pk_mul_f32 v[4:5], v[92:93], v[92:93]                    // 0000000074B8: D3B14004 1802B95C
	v_pk_mul_f32 v[6:7], v[94:95], v[94:95]                    // 0000000074C0: D3B14006 1802BD5E
	v_pk_fma_f32 v[4:5], v[4:5], s[78:79], v[8:9]              // 0000000074C8: D3B04004 1C209D04
	v_pk_fma_f32 v[6:7], v[6:7], s[78:79], v[8:9]              // 0000000074D0: D3B04006 1C209D06
	v_pk_mul_f32 v[4:5], v[4:5], v[92:93]                      // 0000000074D8: D3B14004 1802B904
	v_pk_mul_f32 v[6:7], v[6:7], v[94:95]                      // 0000000074E0: D3B14006 1802BD06
	v_pk_mul_f32 v[4:5], v[4:5], s[60:61]                      // 0000000074E8: D3B14004 18007904
	v_pk_mul_f32 v[6:7], v[6:7], s[60:61]                      // 0000000074F0: D3B14006 18007906
	v_exp_f32_e32 v4, v4                                       // 0000000074F8: 7E084104
	v_exp_f32_e32 v5, v5                                       // 0000000074FC: 7E0A4105
	v_exp_f32_e32 v6, v6                                       // 000000007500: 7E0C4106
	v_exp_f32_e32 v7, v7                                       // 000000007504: 7E0E4107
	v_add_f32_e64 v4, v4, 1.0                                  // 000000007508: D1010004 0001E504
	v_add_f32_e64 v5, v5, 1.0                                  // 000000007510: D1010005 0001E505
	v_add_f32_e64 v6, v6, 1.0                                  // 000000007518: D1010006 0001E506
	v_add_f32_e64 v7, v7, 1.0                                  // 000000007520: D1010007 0001E507
	v_rcp_f32_e32 v4, v4                                       // 000000007528: 7E084504
	v_rcp_f32_e32 v5, v5                                       // 00000000752C: 7E0A4505
	v_rcp_f32_e32 v6, v6                                       // 000000007530: 7E0C4506
	v_rcp_f32_e32 v7, v7                                       // 000000007534: 7E0E4507
	v_mul_f32_e32 v92, v92, v4                                 // 000000007538: 0AB8095C
	v_mul_f32_e32 v93, v93, v5                                 // 00000000753C: 0ABA0B5D
	v_mul_f32_e32 v94, v94, v6                                 // 000000007540: 0ABC0D5E
	v_mul_f32_e32 v95, v95, v7                                 // 000000007544: 0ABE0F5F
	v_mul_f32_e32 v92, v92, v148                               // 000000007548: 0AB9295C
	v_mul_f32_e32 v93, v93, v149                               // 00000000754C: 0ABB2B5D
	v_mul_f32_e32 v94, v94, v150                               // 000000007550: 0ABD2D5E
	v_mul_f32_e32 v95, v95, v151                               // 000000007554: 0ABF2F5F
	v_pk_mul_f32 v[4:5], v[96:97], v[96:97]                    // 000000007558: D3B14004 1802C160
	v_pk_mul_f32 v[6:7], v[98:99], v[98:99]                    // 000000007560: D3B14006 1802C562
	v_pk_fma_f32 v[4:5], v[4:5], s[78:79], v[8:9]              // 000000007568: D3B04004 1C209D04
	v_pk_fma_f32 v[6:7], v[6:7], s[78:79], v[8:9]              // 000000007570: D3B04006 1C209D06
	v_pk_mul_f32 v[4:5], v[4:5], v[96:97]                      // 000000007578: D3B14004 1802C104
	v_pk_mul_f32 v[6:7], v[6:7], v[98:99]                      // 000000007580: D3B14006 1802C506
	v_pk_mul_f32 v[4:5], v[4:5], s[60:61]                      // 000000007588: D3B14004 18007904
	v_pk_mul_f32 v[6:7], v[6:7], s[60:61]                      // 000000007590: D3B14006 18007906
	v_exp_f32_e32 v4, v4                                       // 000000007598: 7E084104
	v_exp_f32_e32 v5, v5                                       // 00000000759C: 7E0A4105
	v_exp_f32_e32 v6, v6                                       // 0000000075A0: 7E0C4106
	v_exp_f32_e32 v7, v7                                       // 0000000075A4: 7E0E4107
	v_add_f32_e64 v4, v4, 1.0                                  // 0000000075A8: D1010004 0001E504
	v_add_f32_e64 v5, v5, 1.0                                  // 0000000075B0: D1010005 0001E505
	v_add_f32_e64 v6, v6, 1.0                                  // 0000000075B8: D1010006 0001E506
	v_add_f32_e64 v7, v7, 1.0                                  // 0000000075C0: D1010007 0001E507
	v_rcp_f32_e32 v4, v4                                       // 0000000075C8: 7E084504
	v_rcp_f32_e32 v5, v5                                       // 0000000075CC: 7E0A4505
	v_rcp_f32_e32 v6, v6                                       // 0000000075D0: 7E0C4506
	v_rcp_f32_e32 v7, v7                                       // 0000000075D4: 7E0E4507
	v_mul_f32_e32 v96, v96, v4                                 // 0000000075D8: 0AC00960
	v_mul_f32_e32 v97, v97, v5                                 // 0000000075DC: 0AC20B61
	v_mul_f32_e32 v98, v98, v6                                 // 0000000075E0: 0AC40D62
	v_mul_f32_e32 v99, v99, v7                                 // 0000000075E4: 0AC60F63
	v_mul_f32_e32 v96, v96, v152                               // 0000000075E8: 0AC13160
	v_mul_f32_e32 v97, v97, v153                               // 0000000075EC: 0AC33361
	v_mul_f32_e32 v98, v98, v154                               // 0000000075F0: 0AC53562
	v_mul_f32_e32 v99, v99, v155                               // 0000000075F4: 0AC73763
	v_pk_mul_f32 v[4:5], v[100:101], v[100:101]                // 0000000075F8: D3B14004 1802C964
	v_pk_mul_f32 v[6:7], v[102:103], v[102:103]                // 000000007600: D3B14006 1802CD66
	v_pk_fma_f32 v[4:5], v[4:5], s[78:79], v[8:9]              // 000000007608: D3B04004 1C209D04
	v_pk_fma_f32 v[6:7], v[6:7], s[78:79], v[8:9]              // 000000007610: D3B04006 1C209D06
	v_pk_mul_f32 v[4:5], v[4:5], v[100:101]                    // 000000007618: D3B14004 1802C904
	v_pk_mul_f32 v[6:7], v[6:7], v[102:103]                    // 000000007620: D3B14006 1802CD06
	v_pk_mul_f32 v[4:5], v[4:5], s[60:61]                      // 000000007628: D3B14004 18007904
	v_pk_mul_f32 v[6:7], v[6:7], s[60:61]                      // 000000007630: D3B14006 18007906
	v_exp_f32_e32 v4, v4                                       // 000000007638: 7E084104
	v_exp_f32_e32 v5, v5                                       // 00000000763C: 7E0A4105
	v_exp_f32_e32 v6, v6                                       // 000000007640: 7E0C4106
	v_exp_f32_e32 v7, v7                                       // 000000007644: 7E0E4107
	v_add_f32_e64 v4, v4, 1.0                                  // 000000007648: D1010004 0001E504
	v_add_f32_e64 v5, v5, 1.0                                  // 000000007650: D1010005 0001E505
	v_add_f32_e64 v6, v6, 1.0                                  // 000000007658: D1010006 0001E506
	v_add_f32_e64 v7, v7, 1.0                                  // 000000007660: D1010007 0001E507
	v_rcp_f32_e32 v4, v4                                       // 000000007668: 7E084504
	v_rcp_f32_e32 v5, v5                                       // 00000000766C: 7E0A4505
	v_rcp_f32_e32 v6, v6                                       // 000000007670: 7E0C4506
	v_rcp_f32_e32 v7, v7                                       // 000000007674: 7E0E4507
	v_mul_f32_e32 v100, v100, v4                               // 000000007678: 0AC80964
	v_mul_f32_e32 v101, v101, v5                               // 00000000767C: 0ACA0B65
	v_mul_f32_e32 v102, v102, v6                               // 000000007680: 0ACC0D66
	v_mul_f32_e32 v103, v103, v7                               // 000000007684: 0ACE0F67
	v_mul_f32_e32 v100, v100, v156                             // 000000007688: 0AC93964
	v_mul_f32_e32 v101, v101, v157                             // 00000000768C: 0ACB3B65
	v_mul_f32_e32 v102, v102, v158                             // 000000007690: 0ACD3D66
	v_mul_f32_e32 v103, v103, v159                             // 000000007694: 0ACF3F67
	v_pk_mul_f32 v[4:5], v[104:105], v[104:105]                // 000000007698: D3B14004 1802D168
	v_pk_mul_f32 v[6:7], v[106:107], v[106:107]                // 0000000076A0: D3B14006 1802D56A
	v_pk_fma_f32 v[4:5], v[4:5], s[78:79], v[8:9]              // 0000000076A8: D3B04004 1C209D04
	v_pk_fma_f32 v[6:7], v[6:7], s[78:79], v[8:9]              // 0000000076B0: D3B04006 1C209D06
	v_pk_mul_f32 v[4:5], v[4:5], v[104:105]                    // 0000000076B8: D3B14004 1802D104
	v_pk_mul_f32 v[6:7], v[6:7], v[106:107]                    // 0000000076C0: D3B14006 1802D506
	v_pk_mul_f32 v[4:5], v[4:5], s[60:61]                      // 0000000076C8: D3B14004 18007904
	v_pk_mul_f32 v[6:7], v[6:7], s[60:61]                      // 0000000076D0: D3B14006 18007906
	v_exp_f32_e32 v4, v4                                       // 0000000076D8: 7E084104
	v_exp_f32_e32 v5, v5                                       // 0000000076DC: 7E0A4105
	v_exp_f32_e32 v6, v6                                       // 0000000076E0: 7E0C4106
	v_exp_f32_e32 v7, v7                                       // 0000000076E4: 7E0E4107
	v_add_f32_e64 v4, v4, 1.0                                  // 0000000076E8: D1010004 0001E504
	v_add_f32_e64 v5, v5, 1.0                                  // 0000000076F0: D1010005 0001E505
	v_add_f32_e64 v6, v6, 1.0                                  // 0000000076F8: D1010006 0001E506
	v_add_f32_e64 v7, v7, 1.0                                  // 000000007700: D1010007 0001E507
	v_rcp_f32_e32 v4, v4                                       // 000000007708: 7E084504
	v_rcp_f32_e32 v5, v5                                       // 00000000770C: 7E0A4505
	v_rcp_f32_e32 v6, v6                                       // 000000007710: 7E0C4506
	v_rcp_f32_e32 v7, v7                                       // 000000007714: 7E0E4507
	v_mul_f32_e32 v104, v104, v4                               // 000000007718: 0AD00968
	v_mul_f32_e32 v105, v105, v5                               // 00000000771C: 0AD20B69
	v_mul_f32_e32 v106, v106, v6                               // 000000007720: 0AD40D6A
	v_mul_f32_e32 v107, v107, v7                               // 000000007724: 0AD60F6B
	v_mul_f32_e32 v104, v104, v160                             // 000000007728: 0AD14168
	v_mul_f32_e32 v105, v105, v161                             // 00000000772C: 0AD34369
	v_mul_f32_e32 v106, v106, v162                             // 000000007730: 0AD5456A
	v_mul_f32_e32 v107, v107, v163                             // 000000007734: 0AD7476B
	v_pk_mul_f32 v[4:5], v[108:109], v[108:109]                // 000000007738: D3B14004 1802D96C
	v_pk_mul_f32 v[6:7], v[110:111], v[110:111]                // 000000007740: D3B14006 1802DD6E
	v_pk_fma_f32 v[4:5], v[4:5], s[78:79], v[8:9]              // 000000007748: D3B04004 1C209D04
	v_pk_fma_f32 v[6:7], v[6:7], s[78:79], v[8:9]              // 000000007750: D3B04006 1C209D06
	v_pk_mul_f32 v[4:5], v[4:5], v[108:109]                    // 000000007758: D3B14004 1802D904
	v_pk_mul_f32 v[6:7], v[6:7], v[110:111]                    // 000000007760: D3B14006 1802DD06
	v_pk_mul_f32 v[4:5], v[4:5], s[60:61]                      // 000000007768: D3B14004 18007904
	v_pk_mul_f32 v[6:7], v[6:7], s[60:61]                      // 000000007770: D3B14006 18007906
	v_exp_f32_e32 v4, v4                                       // 000000007778: 7E084104
	v_exp_f32_e32 v5, v5                                       // 00000000777C: 7E0A4105
	v_exp_f32_e32 v6, v6                                       // 000000007780: 7E0C4106
	v_exp_f32_e32 v7, v7                                       // 000000007784: 7E0E4107
	v_add_f32_e64 v4, v4, 1.0                                  // 000000007788: D1010004 0001E504
	v_add_f32_e64 v5, v5, 1.0                                  // 000000007790: D1010005 0001E505
	v_add_f32_e64 v6, v6, 1.0                                  // 000000007798: D1010006 0001E506
	v_add_f32_e64 v7, v7, 1.0                                  // 0000000077A0: D1010007 0001E507
	v_rcp_f32_e32 v4, v4                                       // 0000000077A8: 7E084504
	v_rcp_f32_e32 v5, v5                                       // 0000000077AC: 7E0A4505
	v_rcp_f32_e32 v6, v6                                       // 0000000077B0: 7E0C4506
	v_rcp_f32_e32 v7, v7                                       // 0000000077B4: 7E0E4507
	v_mul_f32_e32 v108, v108, v4                               // 0000000077B8: 0AD8096C
	v_mul_f32_e32 v109, v109, v5                               // 0000000077BC: 0ADA0B6D
	v_mul_f32_e32 v110, v110, v6                               // 0000000077C0: 0ADC0D6E
	v_mul_f32_e32 v111, v111, v7                               // 0000000077C4: 0ADE0F6F
	v_mul_f32_e32 v108, v108, v164                             // 0000000077C8: 0AD9496C
	v_mul_f32_e32 v109, v109, v165                             // 0000000077CC: 0ADB4B6D
	v_mul_f32_e32 v110, v110, v166                             // 0000000077D0: 0ADD4D6E
	v_mul_f32_e32 v111, v111, v167                             // 0000000077D4: 0ADF4F6F
	v_pk_mul_f32 v[4:5], v[112:113], v[112:113]                // 0000000077D8: D3B14004 1802E170
	v_pk_mul_f32 v[6:7], v[114:115], v[114:115]                // 0000000077E0: D3B14006 1802E572
	v_pk_fma_f32 v[4:5], v[4:5], s[78:79], v[8:9]              // 0000000077E8: D3B04004 1C209D04
	v_pk_fma_f32 v[6:7], v[6:7], s[78:79], v[8:9]              // 0000000077F0: D3B04006 1C209D06
	v_pk_mul_f32 v[4:5], v[4:5], v[112:113]                    // 0000000077F8: D3B14004 1802E104
	v_pk_mul_f32 v[6:7], v[6:7], v[114:115]                    // 000000007800: D3B14006 1802E506
	v_pk_mul_f32 v[4:5], v[4:5], s[60:61]                      // 000000007808: D3B14004 18007904
	v_pk_mul_f32 v[6:7], v[6:7], s[60:61]                      // 000000007810: D3B14006 18007906
	v_exp_f32_e32 v4, v4                                       // 000000007818: 7E084104
	v_exp_f32_e32 v5, v5                                       // 00000000781C: 7E0A4105
	v_exp_f32_e32 v6, v6                                       // 000000007820: 7E0C4106
	v_exp_f32_e32 v7, v7                                       // 000000007824: 7E0E4107
	v_add_f32_e64 v4, v4, 1.0                                  // 000000007828: D1010004 0001E504
	v_add_f32_e64 v5, v5, 1.0                                  // 000000007830: D1010005 0001E505
	v_add_f32_e64 v6, v6, 1.0                                  // 000000007838: D1010006 0001E506
	v_add_f32_e64 v7, v7, 1.0                                  // 000000007840: D1010007 0001E507
	v_rcp_f32_e32 v4, v4                                       // 000000007848: 7E084504
	v_rcp_f32_e32 v5, v5                                       // 00000000784C: 7E0A4505
	v_rcp_f32_e32 v6, v6                                       // 000000007850: 7E0C4506
	v_rcp_f32_e32 v7, v7                                       // 000000007854: 7E0E4507
	v_mul_f32_e32 v112, v112, v4                               // 000000007858: 0AE00970
	v_mul_f32_e32 v113, v113, v5                               // 00000000785C: 0AE20B71
	v_mul_f32_e32 v114, v114, v6                               // 000000007860: 0AE40D72
	v_mul_f32_e32 v115, v115, v7                               // 000000007864: 0AE60F73
	v_mul_f32_e32 v112, v112, v168                             // 000000007868: 0AE15170
	v_mul_f32_e32 v113, v113, v169                             // 00000000786C: 0AE35371
	v_mul_f32_e32 v114, v114, v170                             // 000000007870: 0AE55572
	v_mul_f32_e32 v115, v115, v171                             // 000000007874: 0AE75773
	v_pk_mul_f32 v[4:5], v[116:117], v[116:117]                // 000000007878: D3B14004 1802E974
	v_pk_mul_f32 v[6:7], v[118:119], v[118:119]                // 000000007880: D3B14006 1802ED76
	v_pk_fma_f32 v[4:5], v[4:5], s[78:79], v[8:9]              // 000000007888: D3B04004 1C209D04
	v_pk_fma_f32 v[6:7], v[6:7], s[78:79], v[8:9]              // 000000007890: D3B04006 1C209D06
	v_pk_mul_f32 v[4:5], v[4:5], v[116:117]                    // 000000007898: D3B14004 1802E904
	v_pk_mul_f32 v[6:7], v[6:7], v[118:119]                    // 0000000078A0: D3B14006 1802ED06
	v_pk_mul_f32 v[4:5], v[4:5], s[60:61]                      // 0000000078A8: D3B14004 18007904
	v_pk_mul_f32 v[6:7], v[6:7], s[60:61]                      // 0000000078B0: D3B14006 18007906
	v_exp_f32_e32 v4, v4                                       // 0000000078B8: 7E084104
	v_exp_f32_e32 v5, v5                                       // 0000000078BC: 7E0A4105
	v_exp_f32_e32 v6, v6                                       // 0000000078C0: 7E0C4106
	v_exp_f32_e32 v7, v7                                       // 0000000078C4: 7E0E4107
	v_add_f32_e64 v4, v4, 1.0                                  // 0000000078C8: D1010004 0001E504
	v_add_f32_e64 v5, v5, 1.0                                  // 0000000078D0: D1010005 0001E505
	v_add_f32_e64 v6, v6, 1.0                                  // 0000000078D8: D1010006 0001E506
	v_add_f32_e64 v7, v7, 1.0                                  // 0000000078E0: D1010007 0001E507
	v_rcp_f32_e32 v4, v4                                       // 0000000078E8: 7E084504
	v_rcp_f32_e32 v5, v5                                       // 0000000078EC: 7E0A4505
	v_rcp_f32_e32 v6, v6                                       // 0000000078F0: 7E0C4506
	v_rcp_f32_e32 v7, v7                                       // 0000000078F4: 7E0E4507
	v_mul_f32_e32 v116, v116, v4                               // 0000000078F8: 0AE80974
	v_mul_f32_e32 v117, v117, v5                               // 0000000078FC: 0AEA0B75
	v_mul_f32_e32 v118, v118, v6                               // 000000007900: 0AEC0D76
	v_mul_f32_e32 v119, v119, v7                               // 000000007904: 0AEE0F77
	v_mul_f32_e32 v116, v116, v172                             // 000000007908: 0AE95974
	v_mul_f32_e32 v117, v117, v173                             // 00000000790C: 0AEB5B75
	v_mul_f32_e32 v118, v118, v174                             // 000000007910: 0AED5D76
	v_mul_f32_e32 v119, v119, v175                             // 000000007914: 0AEF5F77
	v_pk_mul_f32 v[4:5], v[120:121], v[120:121]                // 000000007918: D3B14004 1802F178
	v_pk_mul_f32 v[6:7], v[122:123], v[122:123]                // 000000007920: D3B14006 1802F57A
	v_pk_fma_f32 v[4:5], v[4:5], s[78:79], v[8:9]              // 000000007928: D3B04004 1C209D04
	v_pk_fma_f32 v[6:7], v[6:7], s[78:79], v[8:9]              // 000000007930: D3B04006 1C209D06
	v_pk_mul_f32 v[4:5], v[4:5], v[120:121]                    // 000000007938: D3B14004 1802F104
	v_pk_mul_f32 v[6:7], v[6:7], v[122:123]                    // 000000007940: D3B14006 1802F506
	v_pk_mul_f32 v[4:5], v[4:5], s[60:61]                      // 000000007948: D3B14004 18007904
	v_pk_mul_f32 v[6:7], v[6:7], s[60:61]                      // 000000007950: D3B14006 18007906
	v_exp_f32_e32 v4, v4                                       // 000000007958: 7E084104
	v_exp_f32_e32 v5, v5                                       // 00000000795C: 7E0A4105
	v_exp_f32_e32 v6, v6                                       // 000000007960: 7E0C4106
	v_exp_f32_e32 v7, v7                                       // 000000007964: 7E0E4107
	v_add_f32_e64 v4, v4, 1.0                                  // 000000007968: D1010004 0001E504
	v_add_f32_e64 v5, v5, 1.0                                  // 000000007970: D1010005 0001E505
	v_add_f32_e64 v6, v6, 1.0                                  // 000000007978: D1010006 0001E506
	v_add_f32_e64 v7, v7, 1.0                                  // 000000007980: D1010007 0001E507
	v_rcp_f32_e32 v4, v4                                       // 000000007988: 7E084504
	v_rcp_f32_e32 v5, v5                                       // 00000000798C: 7E0A4505
	v_rcp_f32_e32 v6, v6                                       // 000000007990: 7E0C4506
	v_rcp_f32_e32 v7, v7                                       // 000000007994: 7E0E4507
	v_mul_f32_e32 v120, v120, v4                               // 000000007998: 0AF00978
	v_mul_f32_e32 v121, v121, v5                               // 00000000799C: 0AF20B79
	v_mul_f32_e32 v122, v122, v6                               // 0000000079A0: 0AF40D7A
	v_mul_f32_e32 v123, v123, v7                               // 0000000079A4: 0AF60F7B
	v_mul_f32_e32 v120, v120, v176                             // 0000000079A8: 0AF16178
	v_mul_f32_e32 v121, v121, v177                             // 0000000079AC: 0AF36379
	v_mul_f32_e32 v122, v122, v178                             // 0000000079B0: 0AF5657A
	v_mul_f32_e32 v123, v123, v179                             // 0000000079B4: 0AF7677B
	v_pk_mul_f32 v[4:5], v[124:125], v[124:125]                // 0000000079B8: D3B14004 1802F97C
	v_pk_mul_f32 v[6:7], v[126:127], v[126:127]                // 0000000079C0: D3B14006 1802FD7E
	v_pk_fma_f32 v[4:5], v[4:5], s[78:79], v[8:9]              // 0000000079C8: D3B04004 1C209D04
	v_pk_fma_f32 v[6:7], v[6:7], s[78:79], v[8:9]              // 0000000079D0: D3B04006 1C209D06
	v_pk_mul_f32 v[4:5], v[4:5], v[124:125]                    // 0000000079D8: D3B14004 1802F904
	v_pk_mul_f32 v[6:7], v[6:7], v[126:127]                    // 0000000079E0: D3B14006 1802FD06
	v_pk_mul_f32 v[4:5], v[4:5], s[60:61]                      // 0000000079E8: D3B14004 18007904
	v_pk_mul_f32 v[6:7], v[6:7], s[60:61]                      // 0000000079F0: D3B14006 18007906
	v_exp_f32_e32 v4, v4                                       // 0000000079F8: 7E084104
	v_exp_f32_e32 v5, v5                                       // 0000000079FC: 7E0A4105
	v_exp_f32_e32 v6, v6                                       // 000000007A00: 7E0C4106
	v_exp_f32_e32 v7, v7                                       // 000000007A04: 7E0E4107
	v_add_f32_e64 v4, v4, 1.0                                  // 000000007A08: D1010004 0001E504
	v_add_f32_e64 v5, v5, 1.0                                  // 000000007A10: D1010005 0001E505
	v_add_f32_e64 v6, v6, 1.0                                  // 000000007A18: D1010006 0001E506
	v_add_f32_e64 v7, v7, 1.0                                  // 000000007A20: D1010007 0001E507
	v_rcp_f32_e32 v4, v4                                       // 000000007A28: 7E084504
	v_rcp_f32_e32 v5, v5                                       // 000000007A2C: 7E0A4505
	v_rcp_f32_e32 v6, v6                                       // 000000007A30: 7E0C4506
	v_rcp_f32_e32 v7, v7                                       // 000000007A34: 7E0E4507
	v_mul_f32_e32 v124, v124, v4                               // 000000007A38: 0AF8097C
	v_mul_f32_e32 v125, v125, v5                               // 000000007A3C: 0AFA0B7D
	v_mul_f32_e32 v126, v126, v6                               // 000000007A40: 0AFC0D7E
	v_mul_f32_e32 v127, v127, v7                               // 000000007A44: 0AFE0F7F
	v_mul_f32_e32 v124, v124, v180                             // 000000007A48: 0AF9697C
	v_mul_f32_e32 v125, v125, v181                             // 000000007A4C: 0AFB6B7D
	v_mul_f32_e32 v126, v126, v182                             // 000000007A50: 0AFD6D7E
	v_mul_f32_e32 v127, v127, v183                             // 000000007A54: 0AFF6F7F
	v_pk_mul_f32 v[4:5], v[128:129], v[128:129]                // 000000007A58: D3B14004 18030180
	v_pk_mul_f32 v[6:7], v[130:131], v[130:131]                // 000000007A60: D3B14006 18030582
	v_pk_fma_f32 v[4:5], v[4:5], s[78:79], v[8:9]              // 000000007A68: D3B04004 1C209D04
	v_pk_fma_f32 v[6:7], v[6:7], s[78:79], v[8:9]              // 000000007A70: D3B04006 1C209D06
	v_pk_mul_f32 v[4:5], v[4:5], v[128:129]                    // 000000007A78: D3B14004 18030104
	v_pk_mul_f32 v[6:7], v[6:7], v[130:131]                    // 000000007A80: D3B14006 18030506
	v_pk_mul_f32 v[4:5], v[4:5], s[60:61]                      // 000000007A88: D3B14004 18007904
	v_pk_mul_f32 v[6:7], v[6:7], s[60:61]                      // 000000007A90: D3B14006 18007906
	v_exp_f32_e32 v4, v4                                       // 000000007A98: 7E084104
	v_exp_f32_e32 v5, v5                                       // 000000007A9C: 7E0A4105
	v_exp_f32_e32 v6, v6                                       // 000000007AA0: 7E0C4106
	v_exp_f32_e32 v7, v7                                       // 000000007AA4: 7E0E4107
	v_add_f32_e64 v4, v4, 1.0                                  // 000000007AA8: D1010004 0001E504
	v_add_f32_e64 v5, v5, 1.0                                  // 000000007AB0: D1010005 0001E505
	v_add_f32_e64 v6, v6, 1.0                                  // 000000007AB8: D1010006 0001E506
	v_add_f32_e64 v7, v7, 1.0                                  // 000000007AC0: D1010007 0001E507
	v_rcp_f32_e32 v4, v4                                       // 000000007AC8: 7E084504
	v_rcp_f32_e32 v5, v5                                       // 000000007ACC: 7E0A4505
	v_rcp_f32_e32 v6, v6                                       // 000000007AD0: 7E0C4506
	v_rcp_f32_e32 v7, v7                                       // 000000007AD4: 7E0E4507
	v_mul_f32_e32 v128, v128, v4                               // 000000007AD8: 0B000980
	v_mul_f32_e32 v129, v129, v5                               // 000000007ADC: 0B020B81
	v_mul_f32_e32 v130, v130, v6                               // 000000007AE0: 0B040D82
	v_mul_f32_e32 v131, v131, v7                               // 000000007AE4: 0B060F83
	v_mul_f32_e32 v128, v128, v184                             // 000000007AE8: 0B017180
	v_mul_f32_e32 v129, v129, v185                             // 000000007AEC: 0B037381
	v_mul_f32_e32 v130, v130, v186                             // 000000007AF0: 0B057582
	v_mul_f32_e32 v131, v131, v187                             // 000000007AF4: 0B077783
	s_branch label_15FF                                        // 000000007AF8: BF8201C0

0000000000007afc <label_143F>:
	v_mul_f32_e64 v4, -v76, s6                                 // 000000007AFC: D1050004 20000D4C
	v_mul_f32_e64 v5, -v77, s6                                 // 000000007B04: D1050005 20000D4D
	v_mul_f32_e64 v6, -v78, s6                                 // 000000007B0C: D1050006 20000D4E
	v_mul_f32_e64 v7, -v79, s6                                 // 000000007B14: D1050007 20000D4F
	v_exp_f32_e32 v4, v4                                       // 000000007B1C: 7E084104
	v_exp_f32_e32 v5, v5                                       // 000000007B20: 7E0A4105
	v_exp_f32_e32 v6, v6                                       // 000000007B24: 7E0C4106
	v_exp_f32_e32 v7, v7                                       // 000000007B28: 7E0E4107
	v_add_f32_e64 v4, v4, 1.0                                  // 000000007B2C: D1010004 0001E504
	v_add_f32_e64 v5, v5, 1.0                                  // 000000007B34: D1010005 0001E505
	v_add_f32_e64 v6, v6, 1.0                                  // 000000007B3C: D1010006 0001E506
	v_add_f32_e64 v7, v7, 1.0                                  // 000000007B44: D1010007 0001E507
	v_rcp_f32_e32 v4, v4                                       // 000000007B4C: 7E084504
	v_rcp_f32_e32 v5, v5                                       // 000000007B50: 7E0A4505
	v_rcp_f32_e32 v6, v6                                       // 000000007B54: 7E0C4506
	v_rcp_f32_e32 v7, v7                                       // 000000007B58: 7E0E4507
	v_mul_f32_e32 v76, v76, v4                                 // 000000007B5C: 0A98094C
	v_mul_f32_e32 v77, v77, v5                                 // 000000007B60: 0A9A0B4D
	v_mul_f32_e32 v78, v78, v6                                 // 000000007B64: 0A9C0D4E
	v_mul_f32_e32 v79, v79, v7                                 // 000000007B68: 0A9E0F4F
	v_mul_f32_e32 v76, v76, v132                               // 000000007B6C: 0A99094C
	v_mul_f32_e32 v77, v77, v133                               // 000000007B70: 0A9B0B4D
	v_mul_f32_e32 v78, v78, v134                               // 000000007B74: 0A9D0D4E
	v_mul_f32_e32 v79, v79, v135                               // 000000007B78: 0A9F0F4F
	v_mul_f32_e64 v4, -v80, s6                                 // 000000007B7C: D1050004 20000D50
	v_mul_f32_e64 v5, -v81, s6                                 // 000000007B84: D1050005 20000D51
	v_mul_f32_e64 v6, -v82, s6                                 // 000000007B8C: D1050006 20000D52
	v_mul_f32_e64 v7, -v83, s6                                 // 000000007B94: D1050007 20000D53
	v_exp_f32_e32 v4, v4                                       // 000000007B9C: 7E084104
	v_exp_f32_e32 v5, v5                                       // 000000007BA0: 7E0A4105
	v_exp_f32_e32 v6, v6                                       // 000000007BA4: 7E0C4106
	v_exp_f32_e32 v7, v7                                       // 000000007BA8: 7E0E4107
	v_add_f32_e64 v4, v4, 1.0                                  // 000000007BAC: D1010004 0001E504
	v_add_f32_e64 v5, v5, 1.0                                  // 000000007BB4: D1010005 0001E505
	v_add_f32_e64 v6, v6, 1.0                                  // 000000007BBC: D1010006 0001E506
	v_add_f32_e64 v7, v7, 1.0                                  // 000000007BC4: D1010007 0001E507
	v_rcp_f32_e32 v4, v4                                       // 000000007BCC: 7E084504
	v_rcp_f32_e32 v5, v5                                       // 000000007BD0: 7E0A4505
	v_rcp_f32_e32 v6, v6                                       // 000000007BD4: 7E0C4506
	v_rcp_f32_e32 v7, v7                                       // 000000007BD8: 7E0E4507
	v_mul_f32_e32 v80, v80, v4                                 // 000000007BDC: 0AA00950
	v_mul_f32_e32 v81, v81, v5                                 // 000000007BE0: 0AA20B51
	v_mul_f32_e32 v82, v82, v6                                 // 000000007BE4: 0AA40D52
	v_mul_f32_e32 v83, v83, v7                                 // 000000007BE8: 0AA60F53
	v_mul_f32_e32 v80, v80, v136                               // 000000007BEC: 0AA11150
	v_mul_f32_e32 v81, v81, v137                               // 000000007BF0: 0AA31351
	v_mul_f32_e32 v82, v82, v138                               // 000000007BF4: 0AA51552
	v_mul_f32_e32 v83, v83, v139                               // 000000007BF8: 0AA71753
	v_mul_f32_e64 v4, -v84, s6                                 // 000000007BFC: D1050004 20000D54
	v_mul_f32_e64 v5, -v85, s6                                 // 000000007C04: D1050005 20000D55
	v_mul_f32_e64 v6, -v86, s6                                 // 000000007C0C: D1050006 20000D56
	v_mul_f32_e64 v7, -v87, s6                                 // 000000007C14: D1050007 20000D57
	v_exp_f32_e32 v4, v4                                       // 000000007C1C: 7E084104
	v_exp_f32_e32 v5, v5                                       // 000000007C20: 7E0A4105
	v_exp_f32_e32 v6, v6                                       // 000000007C24: 7E0C4106
	v_exp_f32_e32 v7, v7                                       // 000000007C28: 7E0E4107
	v_add_f32_e64 v4, v4, 1.0                                  // 000000007C2C: D1010004 0001E504
	v_add_f32_e64 v5, v5, 1.0                                  // 000000007C34: D1010005 0001E505
	v_add_f32_e64 v6, v6, 1.0                                  // 000000007C3C: D1010006 0001E506
	v_add_f32_e64 v7, v7, 1.0                                  // 000000007C44: D1010007 0001E507
	v_rcp_f32_e32 v4, v4                                       // 000000007C4C: 7E084504
	v_rcp_f32_e32 v5, v5                                       // 000000007C50: 7E0A4505
	v_rcp_f32_e32 v6, v6                                       // 000000007C54: 7E0C4506
	v_rcp_f32_e32 v7, v7                                       // 000000007C58: 7E0E4507
	v_mul_f32_e32 v84, v84, v4                                 // 000000007C5C: 0AA80954
	v_mul_f32_e32 v85, v85, v5                                 // 000000007C60: 0AAA0B55
	v_mul_f32_e32 v86, v86, v6                                 // 000000007C64: 0AAC0D56
	v_mul_f32_e32 v87, v87, v7                                 // 000000007C68: 0AAE0F57
	v_mul_f32_e32 v84, v84, v140                               // 000000007C6C: 0AA91954
	v_mul_f32_e32 v85, v85, v141                               // 000000007C70: 0AAB1B55
	v_mul_f32_e32 v86, v86, v142                               // 000000007C74: 0AAD1D56
	v_mul_f32_e32 v87, v87, v143                               // 000000007C78: 0AAF1F57
	v_mul_f32_e64 v4, -v88, s6                                 // 000000007C7C: D1050004 20000D58
	v_mul_f32_e64 v5, -v89, s6                                 // 000000007C84: D1050005 20000D59
	v_mul_f32_e64 v6, -v90, s6                                 // 000000007C8C: D1050006 20000D5A
	v_mul_f32_e64 v7, -v91, s6                                 // 000000007C94: D1050007 20000D5B
	v_exp_f32_e32 v4, v4                                       // 000000007C9C: 7E084104
	v_exp_f32_e32 v5, v5                                       // 000000007CA0: 7E0A4105
	v_exp_f32_e32 v6, v6                                       // 000000007CA4: 7E0C4106
	v_exp_f32_e32 v7, v7                                       // 000000007CA8: 7E0E4107
	v_add_f32_e64 v4, v4, 1.0                                  // 000000007CAC: D1010004 0001E504
	v_add_f32_e64 v5, v5, 1.0                                  // 000000007CB4: D1010005 0001E505
	v_add_f32_e64 v6, v6, 1.0                                  // 000000007CBC: D1010006 0001E506
	v_add_f32_e64 v7, v7, 1.0                                  // 000000007CC4: D1010007 0001E507
	v_rcp_f32_e32 v4, v4                                       // 000000007CCC: 7E084504
	v_rcp_f32_e32 v5, v5                                       // 000000007CD0: 7E0A4505
	v_rcp_f32_e32 v6, v6                                       // 000000007CD4: 7E0C4506
	v_rcp_f32_e32 v7, v7                                       // 000000007CD8: 7E0E4507
	v_mul_f32_e32 v88, v88, v4                                 // 000000007CDC: 0AB00958
	v_mul_f32_e32 v89, v89, v5                                 // 000000007CE0: 0AB20B59
	v_mul_f32_e32 v90, v90, v6                                 // 000000007CE4: 0AB40D5A
	v_mul_f32_e32 v91, v91, v7                                 // 000000007CE8: 0AB60F5B
	v_mul_f32_e32 v88, v88, v144                               // 000000007CEC: 0AB12158
	v_mul_f32_e32 v89, v89, v145                               // 000000007CF0: 0AB32359
	v_mul_f32_e32 v90, v90, v146                               // 000000007CF4: 0AB5255A
	v_mul_f32_e32 v91, v91, v147                               // 000000007CF8: 0AB7275B
	v_mul_f32_e64 v4, -v92, s6                                 // 000000007CFC: D1050004 20000D5C
	v_mul_f32_e64 v5, -v93, s6                                 // 000000007D04: D1050005 20000D5D
	v_mul_f32_e64 v6, -v94, s6                                 // 000000007D0C: D1050006 20000D5E
	v_mul_f32_e64 v7, -v95, s6                                 // 000000007D14: D1050007 20000D5F
	v_exp_f32_e32 v4, v4                                       // 000000007D1C: 7E084104
	v_exp_f32_e32 v5, v5                                       // 000000007D20: 7E0A4105
	v_exp_f32_e32 v6, v6                                       // 000000007D24: 7E0C4106
	v_exp_f32_e32 v7, v7                                       // 000000007D28: 7E0E4107
	v_add_f32_e64 v4, v4, 1.0                                  // 000000007D2C: D1010004 0001E504
	v_add_f32_e64 v5, v5, 1.0                                  // 000000007D34: D1010005 0001E505
	v_add_f32_e64 v6, v6, 1.0                                  // 000000007D3C: D1010006 0001E506
	v_add_f32_e64 v7, v7, 1.0                                  // 000000007D44: D1010007 0001E507
	v_rcp_f32_e32 v4, v4                                       // 000000007D4C: 7E084504
	v_rcp_f32_e32 v5, v5                                       // 000000007D50: 7E0A4505
	v_rcp_f32_e32 v6, v6                                       // 000000007D54: 7E0C4506
	v_rcp_f32_e32 v7, v7                                       // 000000007D58: 7E0E4507
	v_mul_f32_e32 v92, v92, v4                                 // 000000007D5C: 0AB8095C
	v_mul_f32_e32 v93, v93, v5                                 // 000000007D60: 0ABA0B5D
	v_mul_f32_e32 v94, v94, v6                                 // 000000007D64: 0ABC0D5E
	v_mul_f32_e32 v95, v95, v7                                 // 000000007D68: 0ABE0F5F
	v_mul_f32_e32 v92, v92, v148                               // 000000007D6C: 0AB9295C
	v_mul_f32_e32 v93, v93, v149                               // 000000007D70: 0ABB2B5D
	v_mul_f32_e32 v94, v94, v150                               // 000000007D74: 0ABD2D5E
	v_mul_f32_e32 v95, v95, v151                               // 000000007D78: 0ABF2F5F
	v_mul_f32_e64 v4, -v96, s6                                 // 000000007D7C: D1050004 20000D60
	v_mul_f32_e64 v5, -v97, s6                                 // 000000007D84: D1050005 20000D61
	v_mul_f32_e64 v6, -v98, s6                                 // 000000007D8C: D1050006 20000D62
	v_mul_f32_e64 v7, -v99, s6                                 // 000000007D94: D1050007 20000D63
	v_exp_f32_e32 v4, v4                                       // 000000007D9C: 7E084104
	v_exp_f32_e32 v5, v5                                       // 000000007DA0: 7E0A4105
	v_exp_f32_e32 v6, v6                                       // 000000007DA4: 7E0C4106
	v_exp_f32_e32 v7, v7                                       // 000000007DA8: 7E0E4107
	v_add_f32_e64 v4, v4, 1.0                                  // 000000007DAC: D1010004 0001E504
	v_add_f32_e64 v5, v5, 1.0                                  // 000000007DB4: D1010005 0001E505
	v_add_f32_e64 v6, v6, 1.0                                  // 000000007DBC: D1010006 0001E506
	v_add_f32_e64 v7, v7, 1.0                                  // 000000007DC4: D1010007 0001E507
	v_rcp_f32_e32 v4, v4                                       // 000000007DCC: 7E084504
	v_rcp_f32_e32 v5, v5                                       // 000000007DD0: 7E0A4505
	v_rcp_f32_e32 v6, v6                                       // 000000007DD4: 7E0C4506
	v_rcp_f32_e32 v7, v7                                       // 000000007DD8: 7E0E4507
	v_mul_f32_e32 v96, v96, v4                                 // 000000007DDC: 0AC00960
	v_mul_f32_e32 v97, v97, v5                                 // 000000007DE0: 0AC20B61
	v_mul_f32_e32 v98, v98, v6                                 // 000000007DE4: 0AC40D62
	v_mul_f32_e32 v99, v99, v7                                 // 000000007DE8: 0AC60F63
	v_mul_f32_e32 v96, v96, v152                               // 000000007DEC: 0AC13160
	v_mul_f32_e32 v97, v97, v153                               // 000000007DF0: 0AC33361
	v_mul_f32_e32 v98, v98, v154                               // 000000007DF4: 0AC53562
	v_mul_f32_e32 v99, v99, v155                               // 000000007DF8: 0AC73763
	v_mul_f32_e64 v4, -v100, s6                                // 000000007DFC: D1050004 20000D64
	v_mul_f32_e64 v5, -v101, s6                                // 000000007E04: D1050005 20000D65
	v_mul_f32_e64 v6, -v102, s6                                // 000000007E0C: D1050006 20000D66
	v_mul_f32_e64 v7, -v103, s6                                // 000000007E14: D1050007 20000D67
	v_exp_f32_e32 v4, v4                                       // 000000007E1C: 7E084104
	v_exp_f32_e32 v5, v5                                       // 000000007E20: 7E0A4105
	v_exp_f32_e32 v6, v6                                       // 000000007E24: 7E0C4106
	v_exp_f32_e32 v7, v7                                       // 000000007E28: 7E0E4107
	v_add_f32_e64 v4, v4, 1.0                                  // 000000007E2C: D1010004 0001E504
	v_add_f32_e64 v5, v5, 1.0                                  // 000000007E34: D1010005 0001E505
	v_add_f32_e64 v6, v6, 1.0                                  // 000000007E3C: D1010006 0001E506
	v_add_f32_e64 v7, v7, 1.0                                  // 000000007E44: D1010007 0001E507
	v_rcp_f32_e32 v4, v4                                       // 000000007E4C: 7E084504
	v_rcp_f32_e32 v5, v5                                       // 000000007E50: 7E0A4505
	v_rcp_f32_e32 v6, v6                                       // 000000007E54: 7E0C4506
	v_rcp_f32_e32 v7, v7                                       // 000000007E58: 7E0E4507
	v_mul_f32_e32 v100, v100, v4                               // 000000007E5C: 0AC80964
	v_mul_f32_e32 v101, v101, v5                               // 000000007E60: 0ACA0B65
	v_mul_f32_e32 v102, v102, v6                               // 000000007E64: 0ACC0D66
	v_mul_f32_e32 v103, v103, v7                               // 000000007E68: 0ACE0F67
	v_mul_f32_e32 v100, v100, v156                             // 000000007E6C: 0AC93964
	v_mul_f32_e32 v101, v101, v157                             // 000000007E70: 0ACB3B65
	v_mul_f32_e32 v102, v102, v158                             // 000000007E74: 0ACD3D66
	v_mul_f32_e32 v103, v103, v159                             // 000000007E78: 0ACF3F67
	v_mul_f32_e64 v4, -v104, s6                                // 000000007E7C: D1050004 20000D68
	v_mul_f32_e64 v5, -v105, s6                                // 000000007E84: D1050005 20000D69
	v_mul_f32_e64 v6, -v106, s6                                // 000000007E8C: D1050006 20000D6A
	v_mul_f32_e64 v7, -v107, s6                                // 000000007E94: D1050007 20000D6B
	v_exp_f32_e32 v4, v4                                       // 000000007E9C: 7E084104
	v_exp_f32_e32 v5, v5                                       // 000000007EA0: 7E0A4105
	v_exp_f32_e32 v6, v6                                       // 000000007EA4: 7E0C4106
	v_exp_f32_e32 v7, v7                                       // 000000007EA8: 7E0E4107
	v_add_f32_e64 v4, v4, 1.0                                  // 000000007EAC: D1010004 0001E504
	v_add_f32_e64 v5, v5, 1.0                                  // 000000007EB4: D1010005 0001E505
	v_add_f32_e64 v6, v6, 1.0                                  // 000000007EBC: D1010006 0001E506
	v_add_f32_e64 v7, v7, 1.0                                  // 000000007EC4: D1010007 0001E507
	v_rcp_f32_e32 v4, v4                                       // 000000007ECC: 7E084504
	v_rcp_f32_e32 v5, v5                                       // 000000007ED0: 7E0A4505
	v_rcp_f32_e32 v6, v6                                       // 000000007ED4: 7E0C4506
	v_rcp_f32_e32 v7, v7                                       // 000000007ED8: 7E0E4507
	v_mul_f32_e32 v104, v104, v4                               // 000000007EDC: 0AD00968
	v_mul_f32_e32 v105, v105, v5                               // 000000007EE0: 0AD20B69
	v_mul_f32_e32 v106, v106, v6                               // 000000007EE4: 0AD40D6A
	v_mul_f32_e32 v107, v107, v7                               // 000000007EE8: 0AD60F6B
	v_mul_f32_e32 v104, v104, v160                             // 000000007EEC: 0AD14168
	v_mul_f32_e32 v105, v105, v161                             // 000000007EF0: 0AD34369
	v_mul_f32_e32 v106, v106, v162                             // 000000007EF4: 0AD5456A
	v_mul_f32_e32 v107, v107, v163                             // 000000007EF8: 0AD7476B
	v_mul_f32_e64 v4, -v108, s6                                // 000000007EFC: D1050004 20000D6C
	v_mul_f32_e64 v5, -v109, s6                                // 000000007F04: D1050005 20000D6D
	v_mul_f32_e64 v6, -v110, s6                                // 000000007F0C: D1050006 20000D6E
	v_mul_f32_e64 v7, -v111, s6                                // 000000007F14: D1050007 20000D6F
	v_exp_f32_e32 v4, v4                                       // 000000007F1C: 7E084104
	v_exp_f32_e32 v5, v5                                       // 000000007F20: 7E0A4105
	v_exp_f32_e32 v6, v6                                       // 000000007F24: 7E0C4106
	v_exp_f32_e32 v7, v7                                       // 000000007F28: 7E0E4107
	v_add_f32_e64 v4, v4, 1.0                                  // 000000007F2C: D1010004 0001E504
	v_add_f32_e64 v5, v5, 1.0                                  // 000000007F34: D1010005 0001E505
	v_add_f32_e64 v6, v6, 1.0                                  // 000000007F3C: D1010006 0001E506
	v_add_f32_e64 v7, v7, 1.0                                  // 000000007F44: D1010007 0001E507
	v_rcp_f32_e32 v4, v4                                       // 000000007F4C: 7E084504
	v_rcp_f32_e32 v5, v5                                       // 000000007F50: 7E0A4505
	v_rcp_f32_e32 v6, v6                                       // 000000007F54: 7E0C4506
	v_rcp_f32_e32 v7, v7                                       // 000000007F58: 7E0E4507
	v_mul_f32_e32 v108, v108, v4                               // 000000007F5C: 0AD8096C
	v_mul_f32_e32 v109, v109, v5                               // 000000007F60: 0ADA0B6D
	v_mul_f32_e32 v110, v110, v6                               // 000000007F64: 0ADC0D6E
	v_mul_f32_e32 v111, v111, v7                               // 000000007F68: 0ADE0F6F
	v_mul_f32_e32 v108, v108, v164                             // 000000007F6C: 0AD9496C
	v_mul_f32_e32 v109, v109, v165                             // 000000007F70: 0ADB4B6D
	v_mul_f32_e32 v110, v110, v166                             // 000000007F74: 0ADD4D6E
	v_mul_f32_e32 v111, v111, v167                             // 000000007F78: 0ADF4F6F
	v_mul_f32_e64 v4, -v112, s6                                // 000000007F7C: D1050004 20000D70
	v_mul_f32_e64 v5, -v113, s6                                // 000000007F84: D1050005 20000D71
	v_mul_f32_e64 v6, -v114, s6                                // 000000007F8C: D1050006 20000D72
	v_mul_f32_e64 v7, -v115, s6                                // 000000007F94: D1050007 20000D73
	v_exp_f32_e32 v4, v4                                       // 000000007F9C: 7E084104
	v_exp_f32_e32 v5, v5                                       // 000000007FA0: 7E0A4105
	v_exp_f32_e32 v6, v6                                       // 000000007FA4: 7E0C4106
	v_exp_f32_e32 v7, v7                                       // 000000007FA8: 7E0E4107
	v_add_f32_e64 v4, v4, 1.0                                  // 000000007FAC: D1010004 0001E504
	v_add_f32_e64 v5, v5, 1.0                                  // 000000007FB4: D1010005 0001E505
	v_add_f32_e64 v6, v6, 1.0                                  // 000000007FBC: D1010006 0001E506
	v_add_f32_e64 v7, v7, 1.0                                  // 000000007FC4: D1010007 0001E507
	v_rcp_f32_e32 v4, v4                                       // 000000007FCC: 7E084504
	v_rcp_f32_e32 v5, v5                                       // 000000007FD0: 7E0A4505
	v_rcp_f32_e32 v6, v6                                       // 000000007FD4: 7E0C4506
	v_rcp_f32_e32 v7, v7                                       // 000000007FD8: 7E0E4507
	v_mul_f32_e32 v112, v112, v4                               // 000000007FDC: 0AE00970
	v_mul_f32_e32 v113, v113, v5                               // 000000007FE0: 0AE20B71
	v_mul_f32_e32 v114, v114, v6                               // 000000007FE4: 0AE40D72
	v_mul_f32_e32 v115, v115, v7                               // 000000007FE8: 0AE60F73
	v_mul_f32_e32 v112, v112, v168                             // 000000007FEC: 0AE15170
	v_mul_f32_e32 v113, v113, v169                             // 000000007FF0: 0AE35371
	v_mul_f32_e32 v114, v114, v170                             // 000000007FF4: 0AE55572
	v_mul_f32_e32 v115, v115, v171                             // 000000007FF8: 0AE75773
	v_mul_f32_e64 v4, -v116, s6                                // 000000007FFC: D1050004 20000D74
	v_mul_f32_e64 v5, -v117, s6                                // 000000008004: D1050005 20000D75
	v_mul_f32_e64 v6, -v118, s6                                // 00000000800C: D1050006 20000D76
	v_mul_f32_e64 v7, -v119, s6                                // 000000008014: D1050007 20000D77
	v_exp_f32_e32 v4, v4                                       // 00000000801C: 7E084104
	v_exp_f32_e32 v5, v5                                       // 000000008020: 7E0A4105
	v_exp_f32_e32 v6, v6                                       // 000000008024: 7E0C4106
	v_exp_f32_e32 v7, v7                                       // 000000008028: 7E0E4107
	v_add_f32_e64 v4, v4, 1.0                                  // 00000000802C: D1010004 0001E504
	v_add_f32_e64 v5, v5, 1.0                                  // 000000008034: D1010005 0001E505
	v_add_f32_e64 v6, v6, 1.0                                  // 00000000803C: D1010006 0001E506
	v_add_f32_e64 v7, v7, 1.0                                  // 000000008044: D1010007 0001E507
	v_rcp_f32_e32 v4, v4                                       // 00000000804C: 7E084504
	v_rcp_f32_e32 v5, v5                                       // 000000008050: 7E0A4505
	v_rcp_f32_e32 v6, v6                                       // 000000008054: 7E0C4506
	v_rcp_f32_e32 v7, v7                                       // 000000008058: 7E0E4507
	v_mul_f32_e32 v116, v116, v4                               // 00000000805C: 0AE80974
	v_mul_f32_e32 v117, v117, v5                               // 000000008060: 0AEA0B75
	v_mul_f32_e32 v118, v118, v6                               // 000000008064: 0AEC0D76
	v_mul_f32_e32 v119, v119, v7                               // 000000008068: 0AEE0F77
	v_mul_f32_e32 v116, v116, v172                             // 00000000806C: 0AE95974
	v_mul_f32_e32 v117, v117, v173                             // 000000008070: 0AEB5B75
	v_mul_f32_e32 v118, v118, v174                             // 000000008074: 0AED5D76
	v_mul_f32_e32 v119, v119, v175                             // 000000008078: 0AEF5F77
	v_mul_f32_e64 v4, -v120, s6                                // 00000000807C: D1050004 20000D78
	v_mul_f32_e64 v5, -v121, s6                                // 000000008084: D1050005 20000D79
	v_mul_f32_e64 v6, -v122, s6                                // 00000000808C: D1050006 20000D7A
	v_mul_f32_e64 v7, -v123, s6                                // 000000008094: D1050007 20000D7B
	v_exp_f32_e32 v4, v4                                       // 00000000809C: 7E084104
	v_exp_f32_e32 v5, v5                                       // 0000000080A0: 7E0A4105
	v_exp_f32_e32 v6, v6                                       // 0000000080A4: 7E0C4106
	v_exp_f32_e32 v7, v7                                       // 0000000080A8: 7E0E4107
	v_add_f32_e64 v4, v4, 1.0                                  // 0000000080AC: D1010004 0001E504
	v_add_f32_e64 v5, v5, 1.0                                  // 0000000080B4: D1010005 0001E505
	v_add_f32_e64 v6, v6, 1.0                                  // 0000000080BC: D1010006 0001E506
	v_add_f32_e64 v7, v7, 1.0                                  // 0000000080C4: D1010007 0001E507
	v_rcp_f32_e32 v4, v4                                       // 0000000080CC: 7E084504
	v_rcp_f32_e32 v5, v5                                       // 0000000080D0: 7E0A4505
	v_rcp_f32_e32 v6, v6                                       // 0000000080D4: 7E0C4506
	v_rcp_f32_e32 v7, v7                                       // 0000000080D8: 7E0E4507
	v_mul_f32_e32 v120, v120, v4                               // 0000000080DC: 0AF00978
	v_mul_f32_e32 v121, v121, v5                               // 0000000080E0: 0AF20B79
	v_mul_f32_e32 v122, v122, v6                               // 0000000080E4: 0AF40D7A
	v_mul_f32_e32 v123, v123, v7                               // 0000000080E8: 0AF60F7B
	v_mul_f32_e32 v120, v120, v176                             // 0000000080EC: 0AF16178
	v_mul_f32_e32 v121, v121, v177                             // 0000000080F0: 0AF36379
	v_mul_f32_e32 v122, v122, v178                             // 0000000080F4: 0AF5657A
	v_mul_f32_e32 v123, v123, v179                             // 0000000080F8: 0AF7677B
	v_mul_f32_e64 v4, -v124, s6                                // 0000000080FC: D1050004 20000D7C
	v_mul_f32_e64 v5, -v125, s6                                // 000000008104: D1050005 20000D7D
	v_mul_f32_e64 v6, -v126, s6                                // 00000000810C: D1050006 20000D7E
	v_mul_f32_e64 v7, -v127, s6                                // 000000008114: D1050007 20000D7F
	v_exp_f32_e32 v4, v4                                       // 00000000811C: 7E084104
	v_exp_f32_e32 v5, v5                                       // 000000008120: 7E0A4105
	v_exp_f32_e32 v6, v6                                       // 000000008124: 7E0C4106
	v_exp_f32_e32 v7, v7                                       // 000000008128: 7E0E4107
	v_add_f32_e64 v4, v4, 1.0                                  // 00000000812C: D1010004 0001E504
	v_add_f32_e64 v5, v5, 1.0                                  // 000000008134: D1010005 0001E505
	v_add_f32_e64 v6, v6, 1.0                                  // 00000000813C: D1010006 0001E506
	v_add_f32_e64 v7, v7, 1.0                                  // 000000008144: D1010007 0001E507
	v_rcp_f32_e32 v4, v4                                       // 00000000814C: 7E084504
	v_rcp_f32_e32 v5, v5                                       // 000000008150: 7E0A4505
	v_rcp_f32_e32 v6, v6                                       // 000000008154: 7E0C4506
	v_rcp_f32_e32 v7, v7                                       // 000000008158: 7E0E4507
	v_mul_f32_e32 v124, v124, v4                               // 00000000815C: 0AF8097C
	v_mul_f32_e32 v125, v125, v5                               // 000000008160: 0AFA0B7D
	v_mul_f32_e32 v126, v126, v6                               // 000000008164: 0AFC0D7E
	v_mul_f32_e32 v127, v127, v7                               // 000000008168: 0AFE0F7F
	v_mul_f32_e32 v124, v124, v180                             // 00000000816C: 0AF9697C
	v_mul_f32_e32 v125, v125, v181                             // 000000008170: 0AFB6B7D
	v_mul_f32_e32 v126, v126, v182                             // 000000008174: 0AFD6D7E
	v_mul_f32_e32 v127, v127, v183                             // 000000008178: 0AFF6F7F
	v_mul_f32_e64 v4, -v128, s6                                // 00000000817C: D1050004 20000D80
	v_mul_f32_e64 v5, -v129, s6                                // 000000008184: D1050005 20000D81
	v_mul_f32_e64 v6, -v130, s6                                // 00000000818C: D1050006 20000D82
	v_mul_f32_e64 v7, -v131, s6                                // 000000008194: D1050007 20000D83
	v_exp_f32_e32 v4, v4                                       // 00000000819C: 7E084104
	v_exp_f32_e32 v5, v5                                       // 0000000081A0: 7E0A4105
	v_exp_f32_e32 v6, v6                                       // 0000000081A4: 7E0C4106
	v_exp_f32_e32 v7, v7                                       // 0000000081A8: 7E0E4107
	v_add_f32_e64 v4, v4, 1.0                                  // 0000000081AC: D1010004 0001E504
	v_add_f32_e64 v5, v5, 1.0                                  // 0000000081B4: D1010005 0001E505
	v_add_f32_e64 v6, v6, 1.0                                  // 0000000081BC: D1010006 0001E506
	v_add_f32_e64 v7, v7, 1.0                                  // 0000000081C4: D1010007 0001E507
	v_rcp_f32_e32 v4, v4                                       // 0000000081CC: 7E084504
	v_rcp_f32_e32 v5, v5                                       // 0000000081D0: 7E0A4505
	v_rcp_f32_e32 v6, v6                                       // 0000000081D4: 7E0C4506
	v_rcp_f32_e32 v7, v7                                       // 0000000081D8: 7E0E4507
	v_mul_f32_e32 v128, v128, v4                               // 0000000081DC: 0B000980
	v_mul_f32_e32 v129, v129, v5                               // 0000000081E0: 0B020B81
	v_mul_f32_e32 v130, v130, v6                               // 0000000081E4: 0B040D82
	v_mul_f32_e32 v131, v131, v7                               // 0000000081E8: 0B060F83
	v_mul_f32_e32 v128, v128, v184                             // 0000000081EC: 0B017180
	v_mul_f32_e32 v129, v129, v185                             // 0000000081F0: 0B037381
	v_mul_f32_e32 v130, v130, v186                             // 0000000081F4: 0B057582
	v_mul_f32_e32 v131, v131, v187                             // 0000000081F8: 0B077783

00000000000081fc <label_15FF>:
	s_cmp_eq_u32 s7, 0                                         // 0000000081FC: BF068007
	s_cbranch_scc0 label_1618                                  // 000000008200: BF840017
	v_and_b32_e32 v4, 15, v0                                   // 000000008204: 2608008F
	v_lshlrev_b32_e32 v4, 2, v4                                // 000000008208: 24080882
	buffer_load_dword v30, v4, s[12:15], 0 offen               // 00000000820C: E0501000 80031E04
	v_add_u32_e32 v4, 64, v4                                   // 000000008214: 680808C0
	buffer_load_dword v31, v4, s[12:15], 0 offen               // 000000008218: E0501000 80031F04
	v_add_u32_e32 v4, 64, v4                                   // 000000008220: 680808C0
	buffer_load_dword v32, v4, s[12:15], 0 offen               // 000000008224: E0501000 80032004
	v_add_u32_e32 v4, 64, v4                                   // 00000000822C: 680808C0
	buffer_load_dword v33, v4, s[12:15], 0 offen               // 000000008230: E0501000 80032104
	v_add_u32_e32 v4, 64, v4                                   // 000000008238: 680808C0
	buffer_load_dword v34, v4, s[12:15], 0 offen               // 00000000823C: E0501000 80032204
	v_add_u32_e32 v4, 64, v4                                   // 000000008244: 680808C0
	buffer_load_dword v35, v4, s[12:15], 0 offen               // 000000008248: E0501000 80032304
	v_add_u32_e32 v4, 64, v4                                   // 000000008250: 680808C0
	buffer_load_dword v36, v4, s[12:15], 0 offen               // 000000008254: E0501000 80032404
	v_add_u32_e32 v4, 64, v4                                   // 00000000825C: 680808C0

0000000000008260 <label_1618>:
	v_lshlrev_b32_e32 v4, 2, v0                                // 000000008260: 24080082
	s_mul_i32 s60, 0x100, s7                                   // 000000008264: 923C07FF 00000100
	v_add_u32_e32 v139, s60, v4                                // 00000000826C: 6916083C
	v_and_b32_e32 v4, 15, v0                                   // 000000008270: 2608008F
	v_lshlrev_b32_e32 v140, 2, v4                              // 000000008274: 25180882
	s_waitcnt lgkmcnt(0)                                       // 000000008278: BF8CC07F
	s_barrier                                                  // 00000000827C: BF8A0000
	v_mov_b32_e32 v132, 0x358637bd                             // 000000008280: 7F0802FF 358637BD
	v_max3_f32 v132, |v76|, |v77|, v132                        // 000000008288: D1D30384 06129B4C
	v_max3_f32 v132, |v78|, |v79|, v132                        // 000000008290: D1D30384 06129F4E
	v_max3_f32 v132, |v104|, |v105|, v132                      // 000000008298: D1D30384 0612D368
	v_max3_f32 v132, |v106|, |v107|, v132                      // 0000000082A0: D1D30384 0612D76A
	ds_write_b32 v139, v132                                    // 0000000082A8: D81A0000 0000848B
	s_waitcnt lgkmcnt(0)                                       // 0000000082B0: BF8CC07F
	s_barrier                                                  // 0000000082B4: BF8A0000
	ds_read_b32 v4, v140                                       // 0000000082B8: D86C0000 0400008C
	ds_read_b32 v5, v140 offset:64                             // 0000000082C0: D86C0040 0500008C
	ds_read_b32 v6, v140 offset:128                            // 0000000082C8: D86C0080 0600008C
	ds_read_b32 v7, v140 offset:192                            // 0000000082D0: D86C00C0 0700008C
	ds_read_b32 v8, v140 offset:256                            // 0000000082D8: D86C0100 0800008C
	ds_read_b32 v9, v140 offset:320                            // 0000000082E0: D86C0140 0900008C
	ds_read_b32 v10, v140 offset:384                           // 0000000082E8: D86C0180 0A00008C
	ds_read_b32 v11, v140 offset:448                           // 0000000082F0: D86C01C0 0B00008C
	ds_read_b32 v12, v140 offset:512                           // 0000000082F8: D86C0200 0C00008C
	ds_read_b32 v13, v140 offset:576                           // 000000008300: D86C0240 0D00008C
	ds_read_b32 v14, v140 offset:640                           // 000000008308: D86C0280 0E00008C
	ds_read_b32 v15, v140 offset:704                           // 000000008310: D86C02C0 0F00008C
	ds_read_b32 v16, v140 offset:768                           // 000000008318: D86C0300 1000008C
	ds_read_b32 v17, v140 offset:832                           // 000000008320: D86C0340 1100008C
	ds_read_b32 v18, v140 offset:896                           // 000000008328: D86C0380 1200008C
	ds_read_b32 v19, v140 offset:960                           // 000000008330: D86C03C0 1300008C
	s_waitcnt lgkmcnt(0)                                       // 000000008338: BF8CC07F
	s_barrier                                                  // 00000000833C: BF8A0000
	v_max3_f32 v132, |v4|, |v5|, v132                          // 000000008340: D1D30384 06120B04
	v_max3_f32 v132, |v6|, |v7|, v132                          // 000000008348: D1D30384 06120F06
	v_max3_f32 v132, |v8|, |v9|, v132                          // 000000008350: D1D30384 06121308
	v_max3_f32 v132, |v10|, |v11|, v132                        // 000000008358: D1D30384 0612170A
	v_max3_f32 v132, |v12|, |v13|, v132                        // 000000008360: D1D30384 06121B0C
	v_max3_f32 v132, |v14|, |v15|, v132                        // 000000008368: D1D30384 06121F0E
	v_max3_f32 v132, |v16|, |v17|, v132                        // 000000008370: D1D30384 06122310
	v_max3_f32 v132, |v18|, |v19|, v132                        // 000000008378: D1D30384 06122712
	v_rcp_f32_e32 v132, v132                                   // 000000008380: 7F084584
	v_mov_b32_e32 v4, 0x43700000                               // 000000008384: 7E0802FF 43700000
	v_mul_f32_e32 v132, v4, v132                               // 00000000838C: 0B090904
	v_mov_b32_e32 v4, v132                                     // 000000008390: 7E080384
	v_mov_b32_e32 v5, v4                                       // 000000008394: 7E0A0304
	v_pk_mul_f32 v[76:77], v[4:5], v[76:77]                    // 000000008398: D3B1404C 18029904
	v_pk_mul_f32 v[78:79], v[4:5], v[78:79]                    // 0000000083A0: D3B1404E 18029D04
	v_cvt_pk_fp8_f32 v76, v76, v77                             // 0000000083A8: D2A2004C 00029B4C
	v_cvt_pk_fp8_f32 v76, v78, v79 op_sel:[0,0,1]              // 0000000083B0: D2A2404C 00029F4E
	v_pk_mul_f32 v[104:105], v[4:5], v[104:105]                // 0000000083B8: D3B14068 1802D104
	v_pk_mul_f32 v[106:107], v[4:5], v[106:107]                // 0000000083C0: D3B1406A 1802D504
	v_cvt_pk_fp8_f32 v104, v104, v105                          // 0000000083C8: D2A20068 0002D368
	v_cvt_pk_fp8_f32 v104, v106, v107 op_sel:[0,0,1]           // 0000000083D0: D2A24068 0002D76A
	v_rcp_f32_e32 v132, v132                                   // 0000000083D8: 7F084584
	v_mov_b32_e32 v133, 0x358637bd                             // 0000000083DC: 7F0A02FF 358637BD
	v_max3_f32 v133, |v80|, |v81|, v133                        // 0000000083E4: D1D30385 0616A350
	v_max3_f32 v133, |v82|, |v83|, v133                        // 0000000083EC: D1D30385 0616A752
	v_max3_f32 v133, |v108|, |v109|, v133                      // 0000000083F4: D1D30385 0616DB6C
	v_max3_f32 v133, |v110|, |v111|, v133                      // 0000000083FC: D1D30385 0616DF6E
	ds_write_b32 v139, v133                                    // 000000008404: D81A0000 0000858B
	s_waitcnt lgkmcnt(0)                                       // 00000000840C: BF8CC07F
	s_barrier                                                  // 000000008410: BF8A0000
	ds_read_b32 v4, v140                                       // 000000008414: D86C0000 0400008C
	ds_read_b32 v5, v140 offset:64                             // 00000000841C: D86C0040 0500008C
	ds_read_b32 v6, v140 offset:128                            // 000000008424: D86C0080 0600008C
	ds_read_b32 v7, v140 offset:192                            // 00000000842C: D86C00C0 0700008C
	ds_read_b32 v8, v140 offset:256                            // 000000008434: D86C0100 0800008C
	ds_read_b32 v9, v140 offset:320                            // 00000000843C: D86C0140 0900008C
	ds_read_b32 v10, v140 offset:384                           // 000000008444: D86C0180 0A00008C
	ds_read_b32 v11, v140 offset:448                           // 00000000844C: D86C01C0 0B00008C
	ds_read_b32 v12, v140 offset:512                           // 000000008454: D86C0200 0C00008C
	ds_read_b32 v13, v140 offset:576                           // 00000000845C: D86C0240 0D00008C
	ds_read_b32 v14, v140 offset:640                           // 000000008464: D86C0280 0E00008C
	ds_read_b32 v15, v140 offset:704                           // 00000000846C: D86C02C0 0F00008C
	ds_read_b32 v16, v140 offset:768                           // 000000008474: D86C0300 1000008C
	ds_read_b32 v17, v140 offset:832                           // 00000000847C: D86C0340 1100008C
	ds_read_b32 v18, v140 offset:896                           // 000000008484: D86C0380 1200008C
	ds_read_b32 v19, v140 offset:960                           // 00000000848C: D86C03C0 1300008C
	s_waitcnt lgkmcnt(0)                                       // 000000008494: BF8CC07F
	s_barrier                                                  // 000000008498: BF8A0000
	v_max3_f32 v133, |v4|, |v5|, v133                          // 00000000849C: D1D30385 06160B04
	v_max3_f32 v133, |v6|, |v7|, v133                          // 0000000084A4: D1D30385 06160F06
	v_max3_f32 v133, |v8|, |v9|, v133                          // 0000000084AC: D1D30385 06161308
	v_max3_f32 v133, |v10|, |v11|, v133                        // 0000000084B4: D1D30385 0616170A
	v_max3_f32 v133, |v12|, |v13|, v133                        // 0000000084BC: D1D30385 06161B0C
	v_max3_f32 v133, |v14|, |v15|, v133                        // 0000000084C4: D1D30385 06161F0E
	v_max3_f32 v133, |v16|, |v17|, v133                        // 0000000084CC: D1D30385 06162310
	v_max3_f32 v133, |v18|, |v19|, v133                        // 0000000084D4: D1D30385 06162712
	v_rcp_f32_e32 v133, v133                                   // 0000000084DC: 7F0A4585
	v_mov_b32_e32 v4, 0x43700000                               // 0000000084E0: 7E0802FF 43700000
	v_mul_f32_e32 v133, v4, v133                               // 0000000084E8: 0B0B0B04
	v_mov_b32_e32 v4, v133                                     // 0000000084EC: 7E080385
	v_mov_b32_e32 v5, v4                                       // 0000000084F0: 7E0A0304
	v_pk_mul_f32 v[80:81], v[4:5], v[80:81]                    // 0000000084F4: D3B14050 1802A104
	v_pk_mul_f32 v[82:83], v[4:5], v[82:83]                    // 0000000084FC: D3B14052 1802A504
	v_cvt_pk_fp8_f32 v80, v80, v81                             // 000000008504: D2A20050 0002A350
	v_cvt_pk_fp8_f32 v80, v82, v83 op_sel:[0,0,1]              // 00000000850C: D2A24050 0002A752
	v_pk_mul_f32 v[108:109], v[4:5], v[108:109]                // 000000008514: D3B1406C 1802D904
	v_pk_mul_f32 v[110:111], v[4:5], v[110:111]                // 00000000851C: D3B1406E 1802DD04
	v_cvt_pk_fp8_f32 v108, v108, v109                          // 000000008524: D2A2006C 0002DB6C
	v_cvt_pk_fp8_f32 v108, v110, v111 op_sel:[0,0,1]           // 00000000852C: D2A2406C 0002DF6E
	v_rcp_f32_e32 v133, v133                                   // 000000008534: 7F0A4585
	v_mov_b32_e32 v134, 0x358637bd                             // 000000008538: 7F0C02FF 358637BD
	v_max3_f32 v134, |v84|, |v85|, v134                        // 000000008540: D1D30386 061AAB54
	v_max3_f32 v134, |v86|, |v87|, v134                        // 000000008548: D1D30386 061AAF56
	v_max3_f32 v134, |v112|, |v113|, v134                      // 000000008550: D1D30386 061AE370
	v_max3_f32 v134, |v114|, |v115|, v134                      // 000000008558: D1D30386 061AE772
	ds_write_b32 v139, v134                                    // 000000008560: D81A0000 0000868B
	s_waitcnt lgkmcnt(0)                                       // 000000008568: BF8CC07F
	s_barrier                                                  // 00000000856C: BF8A0000
	ds_read_b32 v4, v140                                       // 000000008570: D86C0000 0400008C
	ds_read_b32 v5, v140 offset:64                             // 000000008578: D86C0040 0500008C
	ds_read_b32 v6, v140 offset:128                            // 000000008580: D86C0080 0600008C
	ds_read_b32 v7, v140 offset:192                            // 000000008588: D86C00C0 0700008C
	ds_read_b32 v8, v140 offset:256                            // 000000008590: D86C0100 0800008C
	ds_read_b32 v9, v140 offset:320                            // 000000008598: D86C0140 0900008C
	ds_read_b32 v10, v140 offset:384                           // 0000000085A0: D86C0180 0A00008C
	ds_read_b32 v11, v140 offset:448                           // 0000000085A8: D86C01C0 0B00008C
	ds_read_b32 v12, v140 offset:512                           // 0000000085B0: D86C0200 0C00008C
	ds_read_b32 v13, v140 offset:576                           // 0000000085B8: D86C0240 0D00008C
	ds_read_b32 v14, v140 offset:640                           // 0000000085C0: D86C0280 0E00008C
	ds_read_b32 v15, v140 offset:704                           // 0000000085C8: D86C02C0 0F00008C
	ds_read_b32 v16, v140 offset:768                           // 0000000085D0: D86C0300 1000008C
	ds_read_b32 v17, v140 offset:832                           // 0000000085D8: D86C0340 1100008C
	ds_read_b32 v18, v140 offset:896                           // 0000000085E0: D86C0380 1200008C
	ds_read_b32 v19, v140 offset:960                           // 0000000085E8: D86C03C0 1300008C
	s_waitcnt lgkmcnt(0)                                       // 0000000085F0: BF8CC07F
	s_barrier                                                  // 0000000085F4: BF8A0000
	v_max3_f32 v134, |v4|, |v5|, v134                          // 0000000085F8: D1D30386 061A0B04
	v_max3_f32 v134, |v6|, |v7|, v134                          // 000000008600: D1D30386 061A0F06
	v_max3_f32 v134, |v8|, |v9|, v134                          // 000000008608: D1D30386 061A1308
	v_max3_f32 v134, |v10|, |v11|, v134                        // 000000008610: D1D30386 061A170A
	v_max3_f32 v134, |v12|, |v13|, v134                        // 000000008618: D1D30386 061A1B0C
	v_max3_f32 v134, |v14|, |v15|, v134                        // 000000008620: D1D30386 061A1F0E
	v_max3_f32 v134, |v16|, |v17|, v134                        // 000000008628: D1D30386 061A2310
	v_max3_f32 v134, |v18|, |v19|, v134                        // 000000008630: D1D30386 061A2712
	v_rcp_f32_e32 v134, v134                                   // 000000008638: 7F0C4586
	v_mov_b32_e32 v4, 0x43700000                               // 00000000863C: 7E0802FF 43700000
	v_mul_f32_e32 v134, v4, v134                               // 000000008644: 0B0D0D04
	v_mov_b32_e32 v4, v134                                     // 000000008648: 7E080386
	v_mov_b32_e32 v5, v4                                       // 00000000864C: 7E0A0304
	v_pk_mul_f32 v[84:85], v[4:5], v[84:85]                    // 000000008650: D3B14054 1802A904
	v_pk_mul_f32 v[86:87], v[4:5], v[86:87]                    // 000000008658: D3B14056 1802AD04
	v_cvt_pk_fp8_f32 v84, v84, v85                             // 000000008660: D2A20054 0002AB54
	v_cvt_pk_fp8_f32 v84, v86, v87 op_sel:[0,0,1]              // 000000008668: D2A24054 0002AF56
	v_pk_mul_f32 v[112:113], v[4:5], v[112:113]                // 000000008670: D3B14070 1802E104
	v_pk_mul_f32 v[114:115], v[4:5], v[114:115]                // 000000008678: D3B14072 1802E504
	v_cvt_pk_fp8_f32 v112, v112, v113                          // 000000008680: D2A20070 0002E370
	v_cvt_pk_fp8_f32 v112, v114, v115 op_sel:[0,0,1]           // 000000008688: D2A24070 0002E772
	v_rcp_f32_e32 v134, v134                                   // 000000008690: 7F0C4586
	v_mov_b32_e32 v135, 0x358637bd                             // 000000008694: 7F0E02FF 358637BD
	v_max3_f32 v135, |v88|, |v89|, v135                        // 00000000869C: D1D30387 061EB358
	v_max3_f32 v135, |v90|, |v91|, v135                        // 0000000086A4: D1D30387 061EB75A
	v_max3_f32 v135, |v116|, |v117|, v135                      // 0000000086AC: D1D30387 061EEB74
	v_max3_f32 v135, |v118|, |v119|, v135                      // 0000000086B4: D1D30387 061EEF76
	ds_write_b32 v139, v135                                    // 0000000086BC: D81A0000 0000878B
	s_waitcnt lgkmcnt(0)                                       // 0000000086C4: BF8CC07F
	s_barrier                                                  // 0000000086C8: BF8A0000
	ds_read_b32 v4, v140                                       // 0000000086CC: D86C0000 0400008C
	ds_read_b32 v5, v140 offset:64                             // 0000000086D4: D86C0040 0500008C
	ds_read_b32 v6, v140 offset:128                            // 0000000086DC: D86C0080 0600008C
	ds_read_b32 v7, v140 offset:192                            // 0000000086E4: D86C00C0 0700008C
	ds_read_b32 v8, v140 offset:256                            // 0000000086EC: D86C0100 0800008C
	ds_read_b32 v9, v140 offset:320                            // 0000000086F4: D86C0140 0900008C
	ds_read_b32 v10, v140 offset:384                           // 0000000086FC: D86C0180 0A00008C
	ds_read_b32 v11, v140 offset:448                           // 000000008704: D86C01C0 0B00008C
	ds_read_b32 v12, v140 offset:512                           // 00000000870C: D86C0200 0C00008C
	ds_read_b32 v13, v140 offset:576                           // 000000008714: D86C0240 0D00008C
	ds_read_b32 v14, v140 offset:640                           // 00000000871C: D86C0280 0E00008C
	ds_read_b32 v15, v140 offset:704                           // 000000008724: D86C02C0 0F00008C
	ds_read_b32 v16, v140 offset:768                           // 00000000872C: D86C0300 1000008C
	ds_read_b32 v17, v140 offset:832                           // 000000008734: D86C0340 1100008C
	ds_read_b32 v18, v140 offset:896                           // 00000000873C: D86C0380 1200008C
	ds_read_b32 v19, v140 offset:960                           // 000000008744: D86C03C0 1300008C
	s_waitcnt lgkmcnt(0)                                       // 00000000874C: BF8CC07F
	s_barrier                                                  // 000000008750: BF8A0000
	v_max3_f32 v135, |v4|, |v5|, v135                          // 000000008754: D1D30387 061E0B04
	v_max3_f32 v135, |v6|, |v7|, v135                          // 00000000875C: D1D30387 061E0F06
	v_max3_f32 v135, |v8|, |v9|, v135                          // 000000008764: D1D30387 061E1308
	v_max3_f32 v135, |v10|, |v11|, v135                        // 00000000876C: D1D30387 061E170A
	v_max3_f32 v135, |v12|, |v13|, v135                        // 000000008774: D1D30387 061E1B0C
	v_max3_f32 v135, |v14|, |v15|, v135                        // 00000000877C: D1D30387 061E1F0E
	v_max3_f32 v135, |v16|, |v17|, v135                        // 000000008784: D1D30387 061E2310
	v_max3_f32 v135, |v18|, |v19|, v135                        // 00000000878C: D1D30387 061E2712
	v_rcp_f32_e32 v135, v135                                   // 000000008794: 7F0E4587
	v_mov_b32_e32 v4, 0x43700000                               // 000000008798: 7E0802FF 43700000
	v_mul_f32_e32 v135, v4, v135                               // 0000000087A0: 0B0F0F04
	v_mov_b32_e32 v4, v135                                     // 0000000087A4: 7E080387
	v_mov_b32_e32 v5, v4                                       // 0000000087A8: 7E0A0304
	v_pk_mul_f32 v[88:89], v[4:5], v[88:89]                    // 0000000087AC: D3B14058 1802B104
	v_pk_mul_f32 v[90:91], v[4:5], v[90:91]                    // 0000000087B4: D3B1405A 1802B504
	v_cvt_pk_fp8_f32 v88, v88, v89                             // 0000000087BC: D2A20058 0002B358
	v_cvt_pk_fp8_f32 v88, v90, v91 op_sel:[0,0,1]              // 0000000087C4: D2A24058 0002B75A
	v_pk_mul_f32 v[116:117], v[4:5], v[116:117]                // 0000000087CC: D3B14074 1802E904
	v_pk_mul_f32 v[118:119], v[4:5], v[118:119]                // 0000000087D4: D3B14076 1802ED04
	v_cvt_pk_fp8_f32 v116, v116, v117                          // 0000000087DC: D2A20074 0002EB74
	v_cvt_pk_fp8_f32 v116, v118, v119 op_sel:[0,0,1]           // 0000000087E4: D2A24074 0002EF76
	v_rcp_f32_e32 v135, v135                                   // 0000000087EC: 7F0E4587
	v_mov_b32_e32 v136, 0x358637bd                             // 0000000087F0: 7F1002FF 358637BD
	v_max3_f32 v136, |v92|, |v93|, v136                        // 0000000087F8: D1D30388 0622BB5C
	v_max3_f32 v136, |v94|, |v95|, v136                        // 000000008800: D1D30388 0622BF5E
	v_max3_f32 v136, |v120|, |v121|, v136                      // 000000008808: D1D30388 0622F378
	v_max3_f32 v136, |v122|, |v123|, v136                      // 000000008810: D1D30388 0622F77A
	ds_write_b32 v139, v136                                    // 000000008818: D81A0000 0000888B
	s_waitcnt lgkmcnt(0)                                       // 000000008820: BF8CC07F
	s_barrier                                                  // 000000008824: BF8A0000
	ds_read_b32 v4, v140                                       // 000000008828: D86C0000 0400008C
	ds_read_b32 v5, v140 offset:64                             // 000000008830: D86C0040 0500008C
	ds_read_b32 v6, v140 offset:128                            // 000000008838: D86C0080 0600008C
	ds_read_b32 v7, v140 offset:192                            // 000000008840: D86C00C0 0700008C
	ds_read_b32 v8, v140 offset:256                            // 000000008848: D86C0100 0800008C
	ds_read_b32 v9, v140 offset:320                            // 000000008850: D86C0140 0900008C
	ds_read_b32 v10, v140 offset:384                           // 000000008858: D86C0180 0A00008C
	ds_read_b32 v11, v140 offset:448                           // 000000008860: D86C01C0 0B00008C
	ds_read_b32 v12, v140 offset:512                           // 000000008868: D86C0200 0C00008C
	ds_read_b32 v13, v140 offset:576                           // 000000008870: D86C0240 0D00008C
	ds_read_b32 v14, v140 offset:640                           // 000000008878: D86C0280 0E00008C
	ds_read_b32 v15, v140 offset:704                           // 000000008880: D86C02C0 0F00008C
	ds_read_b32 v16, v140 offset:768                           // 000000008888: D86C0300 1000008C
	ds_read_b32 v17, v140 offset:832                           // 000000008890: D86C0340 1100008C
	ds_read_b32 v18, v140 offset:896                           // 000000008898: D86C0380 1200008C
	ds_read_b32 v19, v140 offset:960                           // 0000000088A0: D86C03C0 1300008C
	s_waitcnt lgkmcnt(0)                                       // 0000000088A8: BF8CC07F
	s_barrier                                                  // 0000000088AC: BF8A0000
	v_max3_f32 v136, |v4|, |v5|, v136                          // 0000000088B0: D1D30388 06220B04
	v_max3_f32 v136, |v6|, |v7|, v136                          // 0000000088B8: D1D30388 06220F06
	v_max3_f32 v136, |v8|, |v9|, v136                          // 0000000088C0: D1D30388 06221308
	v_max3_f32 v136, |v10|, |v11|, v136                        // 0000000088C8: D1D30388 0622170A
	v_max3_f32 v136, |v12|, |v13|, v136                        // 0000000088D0: D1D30388 06221B0C
	v_max3_f32 v136, |v14|, |v15|, v136                        // 0000000088D8: D1D30388 06221F0E
	v_max3_f32 v136, |v16|, |v17|, v136                        // 0000000088E0: D1D30388 06222310
	v_max3_f32 v136, |v18|, |v19|, v136                        // 0000000088E8: D1D30388 06222712
	v_rcp_f32_e32 v136, v136                                   // 0000000088F0: 7F104588
	v_mov_b32_e32 v4, 0x43700000                               // 0000000088F4: 7E0802FF 43700000
	v_mul_f32_e32 v136, v4, v136                               // 0000000088FC: 0B111104
	v_mov_b32_e32 v4, v136                                     // 000000008900: 7E080388
	v_mov_b32_e32 v5, v4                                       // 000000008904: 7E0A0304
	v_pk_mul_f32 v[92:93], v[4:5], v[92:93]                    // 000000008908: D3B1405C 1802B904
	v_pk_mul_f32 v[94:95], v[4:5], v[94:95]                    // 000000008910: D3B1405E 1802BD04
	v_cvt_pk_fp8_f32 v92, v92, v93                             // 000000008918: D2A2005C 0002BB5C
	v_cvt_pk_fp8_f32 v92, v94, v95 op_sel:[0,0,1]              // 000000008920: D2A2405C 0002BF5E
	v_pk_mul_f32 v[120:121], v[4:5], v[120:121]                // 000000008928: D3B14078 1802F104
	v_pk_mul_f32 v[122:123], v[4:5], v[122:123]                // 000000008930: D3B1407A 1802F504
	v_cvt_pk_fp8_f32 v120, v120, v121                          // 000000008938: D2A20078 0002F378
	v_cvt_pk_fp8_f32 v120, v122, v123 op_sel:[0,0,1]           // 000000008940: D2A24078 0002F77A
	v_rcp_f32_e32 v136, v136                                   // 000000008948: 7F104588
	v_mov_b32_e32 v137, 0x358637bd                             // 00000000894C: 7F1202FF 358637BD
	v_max3_f32 v137, |v96|, |v97|, v137                        // 000000008954: D1D30389 0626C360
	v_max3_f32 v137, |v98|, |v99|, v137                        // 00000000895C: D1D30389 0626C762
	v_max3_f32 v137, |v124|, |v125|, v137                      // 000000008964: D1D30389 0626FB7C
	v_max3_f32 v137, |v126|, |v127|, v137                      // 00000000896C: D1D30389 0626FF7E
	ds_write_b32 v139, v137                                    // 000000008974: D81A0000 0000898B
	s_waitcnt lgkmcnt(0)                                       // 00000000897C: BF8CC07F
	s_barrier                                                  // 000000008980: BF8A0000
	ds_read_b32 v4, v140                                       // 000000008984: D86C0000 0400008C
	ds_read_b32 v5, v140 offset:64                             // 00000000898C: D86C0040 0500008C
	ds_read_b32 v6, v140 offset:128                            // 000000008994: D86C0080 0600008C
	ds_read_b32 v7, v140 offset:192                            // 00000000899C: D86C00C0 0700008C
	ds_read_b32 v8, v140 offset:256                            // 0000000089A4: D86C0100 0800008C
	ds_read_b32 v9, v140 offset:320                            // 0000000089AC: D86C0140 0900008C
	ds_read_b32 v10, v140 offset:384                           // 0000000089B4: D86C0180 0A00008C
	ds_read_b32 v11, v140 offset:448                           // 0000000089BC: D86C01C0 0B00008C
	ds_read_b32 v12, v140 offset:512                           // 0000000089C4: D86C0200 0C00008C
	ds_read_b32 v13, v140 offset:576                           // 0000000089CC: D86C0240 0D00008C
	ds_read_b32 v14, v140 offset:640                           // 0000000089D4: D86C0280 0E00008C
	ds_read_b32 v15, v140 offset:704                           // 0000000089DC: D86C02C0 0F00008C
	ds_read_b32 v16, v140 offset:768                           // 0000000089E4: D86C0300 1000008C
	ds_read_b32 v17, v140 offset:832                           // 0000000089EC: D86C0340 1100008C
	ds_read_b32 v18, v140 offset:896                           // 0000000089F4: D86C0380 1200008C
	ds_read_b32 v19, v140 offset:960                           // 0000000089FC: D86C03C0 1300008C
	s_waitcnt lgkmcnt(0)                                       // 000000008A04: BF8CC07F
	s_barrier                                                  // 000000008A08: BF8A0000
	v_max3_f32 v137, |v4|, |v5|, v137                          // 000000008A0C: D1D30389 06260B04
	v_max3_f32 v137, |v6|, |v7|, v137                          // 000000008A14: D1D30389 06260F06
	v_max3_f32 v137, |v8|, |v9|, v137                          // 000000008A1C: D1D30389 06261308
	v_max3_f32 v137, |v10|, |v11|, v137                        // 000000008A24: D1D30389 0626170A
	v_max3_f32 v137, |v12|, |v13|, v137                        // 000000008A2C: D1D30389 06261B0C
	v_max3_f32 v137, |v14|, |v15|, v137                        // 000000008A34: D1D30389 06261F0E
	v_max3_f32 v137, |v16|, |v17|, v137                        // 000000008A3C: D1D30389 06262310
	v_max3_f32 v137, |v18|, |v19|, v137                        // 000000008A44: D1D30389 06262712
	v_rcp_f32_e32 v137, v137                                   // 000000008A4C: 7F124589
	v_mov_b32_e32 v4, 0x43700000                               // 000000008A50: 7E0802FF 43700000
	v_mul_f32_e32 v137, v4, v137                               // 000000008A58: 0B131304
	v_mov_b32_e32 v4, v137                                     // 000000008A5C: 7E080389
	v_mov_b32_e32 v5, v4                                       // 000000008A60: 7E0A0304
	v_pk_mul_f32 v[96:97], v[4:5], v[96:97]                    // 000000008A64: D3B14060 1802C104
	v_pk_mul_f32 v[98:99], v[4:5], v[98:99]                    // 000000008A6C: D3B14062 1802C504
	v_cvt_pk_fp8_f32 v96, v96, v97                             // 000000008A74: D2A20060 0002C360
	v_cvt_pk_fp8_f32 v96, v98, v99 op_sel:[0,0,1]              // 000000008A7C: D2A24060 0002C762
	v_pk_mul_f32 v[124:125], v[4:5], v[124:125]                // 000000008A84: D3B1407C 1802F904
	v_pk_mul_f32 v[126:127], v[4:5], v[126:127]                // 000000008A8C: D3B1407E 1802FD04
	v_cvt_pk_fp8_f32 v124, v124, v125                          // 000000008A94: D2A2007C 0002FB7C
	v_cvt_pk_fp8_f32 v124, v126, v127 op_sel:[0,0,1]           // 000000008A9C: D2A2407C 0002FF7E
	v_rcp_f32_e32 v137, v137                                   // 000000008AA4: 7F124589
	v_mov_b32_e32 v138, 0x358637bd                             // 000000008AA8: 7F1402FF 358637BD
	v_max3_f32 v138, |v100|, |v101|, v138                      // 000000008AB0: D1D3038A 062ACB64
	v_max3_f32 v138, |v102|, |v103|, v138                      // 000000008AB8: D1D3038A 062ACF66
	v_max3_f32 v138, |v128|, |v129|, v138                      // 000000008AC0: D1D3038A 062B0380
	v_max3_f32 v138, |v130|, |v131|, v138                      // 000000008AC8: D1D3038A 062B0782
	ds_write_b32 v139, v138                                    // 000000008AD0: D81A0000 00008A8B
	s_waitcnt lgkmcnt(0)                                       // 000000008AD8: BF8CC07F
	s_barrier                                                  // 000000008ADC: BF8A0000
	ds_read_b32 v4, v140                                       // 000000008AE0: D86C0000 0400008C
	ds_read_b32 v5, v140 offset:64                             // 000000008AE8: D86C0040 0500008C
	ds_read_b32 v6, v140 offset:128                            // 000000008AF0: D86C0080 0600008C
	ds_read_b32 v7, v140 offset:192                            // 000000008AF8: D86C00C0 0700008C
	ds_read_b32 v8, v140 offset:256                            // 000000008B00: D86C0100 0800008C
	ds_read_b32 v9, v140 offset:320                            // 000000008B08: D86C0140 0900008C
	ds_read_b32 v10, v140 offset:384                           // 000000008B10: D86C0180 0A00008C
	ds_read_b32 v11, v140 offset:448                           // 000000008B18: D86C01C0 0B00008C
	ds_read_b32 v12, v140 offset:512                           // 000000008B20: D86C0200 0C00008C
	ds_read_b32 v13, v140 offset:576                           // 000000008B28: D86C0240 0D00008C
	ds_read_b32 v14, v140 offset:640                           // 000000008B30: D86C0280 0E00008C
	ds_read_b32 v15, v140 offset:704                           // 000000008B38: D86C02C0 0F00008C
	ds_read_b32 v16, v140 offset:768                           // 000000008B40: D86C0300 1000008C
	ds_read_b32 v17, v140 offset:832                           // 000000008B48: D86C0340 1100008C
	ds_read_b32 v18, v140 offset:896                           // 000000008B50: D86C0380 1200008C
	ds_read_b32 v19, v140 offset:960                           // 000000008B58: D86C03C0 1300008C
	s_waitcnt lgkmcnt(0)                                       // 000000008B60: BF8CC07F
	s_barrier                                                  // 000000008B64: BF8A0000
	v_max3_f32 v138, |v4|, |v5|, v138                          // 000000008B68: D1D3038A 062A0B04
	v_max3_f32 v138, |v6|, |v7|, v138                          // 000000008B70: D1D3038A 062A0F06
	v_max3_f32 v138, |v8|, |v9|, v138                          // 000000008B78: D1D3038A 062A1308
	v_max3_f32 v138, |v10|, |v11|, v138                        // 000000008B80: D1D3038A 062A170A
	v_max3_f32 v138, |v12|, |v13|, v138                        // 000000008B88: D1D3038A 062A1B0C
	v_max3_f32 v138, |v14|, |v15|, v138                        // 000000008B90: D1D3038A 062A1F0E
	v_max3_f32 v138, |v16|, |v17|, v138                        // 000000008B98: D1D3038A 062A2310
	v_max3_f32 v138, |v18|, |v19|, v138                        // 000000008BA0: D1D3038A 062A2712
	v_rcp_f32_e32 v138, v138                                   // 000000008BA8: 7F14458A
	v_mov_b32_e32 v4, 0x43700000                               // 000000008BAC: 7E0802FF 43700000
	v_mul_f32_e32 v138, v4, v138                               // 000000008BB4: 0B151504
	v_mov_b32_e32 v4, v138                                     // 000000008BB8: 7E08038A
	v_mov_b32_e32 v5, v4                                       // 000000008BBC: 7E0A0304
	v_pk_mul_f32 v[100:101], v[4:5], v[100:101]                // 000000008BC0: D3B14064 1802C904
	v_pk_mul_f32 v[102:103], v[4:5], v[102:103]                // 000000008BC8: D3B14066 1802CD04
	v_cvt_pk_fp8_f32 v100, v100, v101                          // 000000008BD0: D2A20064 0002CB64
	v_cvt_pk_fp8_f32 v100, v102, v103 op_sel:[0,0,1]           // 000000008BD8: D2A24064 0002CF66
	v_pk_mul_f32 v[128:129], v[4:5], v[128:129]                // 000000008BE0: D3B14080 18030104
	v_pk_mul_f32 v[130:131], v[4:5], v[130:131]                // 000000008BE8: D3B14082 18030504
	v_cvt_pk_fp8_f32 v128, v128, v129                          // 000000008BF0: D2A20080 00030380
	v_cvt_pk_fp8_f32 v128, v130, v131 op_sel:[0,0,1]           // 000000008BF8: D2A24080 00030782
	v_rcp_f32_e32 v138, v138                                   // 000000008C00: 7F14458A
	v_lshrrev_b32_e32 v4, 5, v0                                // 000000008C04: 20080085
	v_mul_lo_u32 v20, 34, v4                                   // 000000008C08: D2850014 000208A2
	v_and_b32_e32 v4, 31, v0                                   // 000000008C10: 2608009F
	v_lshrrev_b32_e32 v5, 4, v4                                // 000000008C14: 200A0884
	v_add_u32_e32 v20, v5, v20                                 // 000000008C18: 68282905
	v_and_b32_e32 v4, 15, v0                                   // 000000008C1C: 2608008F
	v_mul_lo_u32 v5, 2, v4                                     // 000000008C20: D2850005 00020882
	v_add_u32_e32 v20, v5, v20                                 // 000000008C28: 68282905
	s_mul_i32 s60, s7, 0x44                                    // 000000008C2C: 923CFF07 00000044
	v_add_u32_e32 v20, s60, v20                                // 000000008C34: 6828283C
	v_lshlrev_b32_e32 v20, 2, v20                              // 000000008C38: 24282882
	ds_write_b32 v20, v76                                      // 000000008C3C: D81A0000 00004C14
	ds_write_b32 v20, v80 offset:2176                          // 000000008C44: D81A0880 00005014
	ds_write_b32 v20, v84 offset:4352                          // 000000008C4C: D81A1100 00005414
	ds_write_b32 v20, v88 offset:6528                          // 000000008C54: D81A1980 00005814
	ds_write_b32 v20, v92 offset:8704                          // 000000008C5C: D81A2200 00005C14
	ds_write_b32 v20, v96 offset:10880                         // 000000008C64: D81A2A80 00006014
	ds_write_b32 v20, v100 offset:13056                        // 000000008C6C: D81A3300 00006414
	ds_write_b32 v20, v104 offset:1088                         // 000000008C74: D81A0440 00006814
	ds_write_b32 v20, v108 offset:3264                         // 000000008C7C: D81A0CC0 00006C14
	ds_write_b32 v20, v112 offset:5440                         // 000000008C84: D81A1540 00007014
	ds_write_b32 v20, v116 offset:7616                         // 000000008C8C: D81A1DC0 00007414
	ds_write_b32 v20, v120 offset:9792                         // 000000008C94: D81A2640 00007814
	ds_write_b32 v20, v124 offset:11968                        // 000000008C9C: D81A2EC0 00007C14
	ds_write_b32 v20, v128 offset:14144                        // 000000008CA4: D81A3740 00008014
	v_lshrrev_b32_e32 v4, 5, v0                                // 000000008CAC: 20080085
	v_xor_b32_e32 v5, 1, v4                                    // 000000008CB0: 2A0A0881
	s_mul_i32 s60, s65, 1                                      // 000000008CB4: 923C8141
	s_cmp_eq_u32 s88, 0                                        // 000000008CB8: BF068058
	s_cselect_b32 s61, 1, 8                                    // 000000008CBC: 853D8881
	s_mul_i32 s60, s61, s60                                    // 000000008CC0: 923C3C3D
	v_readlane_b32 s82, v3, 0                                  // 000000008CC4: D2890052 00010103
	s_lshr_b32 s61, s82, 24                                    // 000000008CCC: 8F3D9852
	s_and_b32 s82, s82, 0xffffff                               // 000000008CD0: 8652FF52 00FFFFFF
	s_mul_i32 s82, s82, s71                                    // 000000008CD8: 92524752
	s_mul_i32 s61, s60, s61                                    // 000000008CDC: 923D3D3C
	s_add_u32 s82, s82, s61                                    // 000000008CE0: 80523D52
	v_mul_lo_u32 v6, v5, s82                                   // 000000008CE4: D2850006 0000A505
	v_readlane_b32 s82, v3, 1                                  // 000000008CEC: D2890052 00010303
	s_lshr_b32 s61, s82, 24                                    // 000000008CF4: 8F3D9852
	s_and_b32 s82, s82, 0xffffff                               // 000000008CF8: 8652FF52 00FFFFFF
	s_mul_i32 s82, s82, s71                                    // 000000008D00: 92524752
	s_mul_i32 s61, s60, s61                                    // 000000008D04: 923D3D3C
	s_add_u32 s82, s82, s61                                    // 000000008D08: 80523D52
	v_mul_lo_u32 v7, v4, s82                                   // 000000008D0C: D2850007 0000A504
	v_add_u32_e32 v58, v6, v7                                  // 000000008D14: 68740F06
	v_readlane_b32 s82, v3, 2                                  // 000000008D18: D2890052 00010503
	s_lshr_b32 s61, s82, 24                                    // 000000008D20: 8F3D9852
	s_and_b32 s82, s82, 0xffffff                               // 000000008D24: 8652FF52 00FFFFFF
	s_mul_i32 s82, s82, s71                                    // 000000008D2C: 92524752
	s_mul_i32 s61, s60, s61                                    // 000000008D30: 923D3D3C
	s_add_u32 s82, s82, s61                                    // 000000008D34: 80523D52
	v_mul_lo_u32 v6, v5, s82                                   // 000000008D38: D2850006 0000A505
	v_readlane_b32 s82, v3, 3                                  // 000000008D40: D2890052 00010703
	s_lshr_b32 s61, s82, 24                                    // 000000008D48: 8F3D9852
	s_and_b32 s82, s82, 0xffffff                               // 000000008D4C: 8652FF52 00FFFFFF
	s_mul_i32 s82, s82, s71                                    // 000000008D54: 92524752
	s_mul_i32 s61, s60, s61                                    // 000000008D58: 923D3D3C
	s_add_u32 s82, s82, s61                                    // 000000008D5C: 80523D52
	v_mul_lo_u32 v7, v4, s82                                   // 000000008D60: D2850007 0000A504
	v_add_u32_e32 v59, v6, v7                                  // 000000008D68: 68760F06
	v_readlane_b32 s82, v3, 4                                  // 000000008D6C: D2890052 00010903
	s_lshr_b32 s61, s82, 24                                    // 000000008D74: 8F3D9852
	s_and_b32 s82, s82, 0xffffff                               // 000000008D78: 8652FF52 00FFFFFF
	s_mul_i32 s82, s82, s71                                    // 000000008D80: 92524752
	s_mul_i32 s61, s60, s61                                    // 000000008D84: 923D3D3C
	s_add_u32 s82, s82, s61                                    // 000000008D88: 80523D52
	v_mul_lo_u32 v6, v5, s82                                   // 000000008D8C: D2850006 0000A505
	v_readlane_b32 s82, v3, 5                                  // 000000008D94: D2890052 00010B03
	s_lshr_b32 s61, s82, 24                                    // 000000008D9C: 8F3D9852
	s_and_b32 s82, s82, 0xffffff                               // 000000008DA0: 8652FF52 00FFFFFF
	s_mul_i32 s82, s82, s71                                    // 000000008DA8: 92524752
	s_mul_i32 s61, s60, s61                                    // 000000008DAC: 923D3D3C
	s_add_u32 s82, s82, s61                                    // 000000008DB0: 80523D52
	v_mul_lo_u32 v7, v4, s82                                   // 000000008DB4: D2850007 0000A504
	v_add_u32_e32 v60, v6, v7                                  // 000000008DBC: 68780F06
	v_readlane_b32 s82, v3, 6                                  // 000000008DC0: D2890052 00010D03
	s_lshr_b32 s61, s82, 24                                    // 000000008DC8: 8F3D9852
	s_and_b32 s82, s82, 0xffffff                               // 000000008DCC: 8652FF52 00FFFFFF
	s_mul_i32 s82, s82, s71                                    // 000000008DD4: 92524752
	s_mul_i32 s61, s60, s61                                    // 000000008DD8: 923D3D3C
	s_add_u32 s82, s82, s61                                    // 000000008DDC: 80523D52
	v_mul_lo_u32 v6, v5, s82                                   // 000000008DE0: D2850006 0000A505
	v_readlane_b32 s82, v3, 7                                  // 000000008DE8: D2890052 00010F03
	s_lshr_b32 s61, s82, 24                                    // 000000008DF0: 8F3D9852
	s_and_b32 s82, s82, 0xffffff                               // 000000008DF4: 8652FF52 00FFFFFF
	s_mul_i32 s82, s82, s71                                    // 000000008DFC: 92524752
	s_mul_i32 s61, s60, s61                                    // 000000008E00: 923D3D3C
	s_add_u32 s82, s82, s61                                    // 000000008E04: 80523D52
	v_mul_lo_u32 v7, v4, s82                                   // 000000008E08: D2850007 0000A504
	v_add_u32_e32 v61, v6, v7                                  // 000000008E10: 687A0F06
	v_readlane_b32 s82, v3, 8                                  // 000000008E14: D2890052 00011103
	s_lshr_b32 s61, s82, 24                                    // 000000008E1C: 8F3D9852
	s_and_b32 s82, s82, 0xffffff                               // 000000008E20: 8652FF52 00FFFFFF
	s_mul_i32 s82, s82, s71                                    // 000000008E28: 92524752
	s_mul_i32 s61, s60, s61                                    // 000000008E2C: 923D3D3C
	s_add_u32 s82, s82, s61                                    // 000000008E30: 80523D52
	v_mul_lo_u32 v6, v5, s82                                   // 000000008E34: D2850006 0000A505
	v_readlane_b32 s82, v3, 9                                  // 000000008E3C: D2890052 00011303
	s_lshr_b32 s61, s82, 24                                    // 000000008E44: 8F3D9852
	s_and_b32 s82, s82, 0xffffff                               // 000000008E48: 8652FF52 00FFFFFF
	s_mul_i32 s82, s82, s71                                    // 000000008E50: 92524752
	s_mul_i32 s61, s60, s61                                    // 000000008E54: 923D3D3C
	s_add_u32 s82, s82, s61                                    // 000000008E58: 80523D52
	v_mul_lo_u32 v7, v4, s82                                   // 000000008E5C: D2850007 0000A504
	v_add_u32_e32 v62, v6, v7                                  // 000000008E64: 687C0F06
	v_readlane_b32 s82, v3, 10                                 // 000000008E68: D2890052 00011503
	s_lshr_b32 s61, s82, 24                                    // 000000008E70: 8F3D9852
	s_and_b32 s82, s82, 0xffffff                               // 000000008E74: 8652FF52 00FFFFFF
	s_mul_i32 s82, s82, s71                                    // 000000008E7C: 92524752
	s_mul_i32 s61, s60, s61                                    // 000000008E80: 923D3D3C
	s_add_u32 s82, s82, s61                                    // 000000008E84: 80523D52
	v_mul_lo_u32 v6, v5, s82                                   // 000000008E88: D2850006 0000A505
	v_readlane_b32 s82, v3, 11                                 // 000000008E90: D2890052 00011703
	s_lshr_b32 s61, s82, 24                                    // 000000008E98: 8F3D9852
	s_and_b32 s82, s82, 0xffffff                               // 000000008E9C: 8652FF52 00FFFFFF
	s_mul_i32 s82, s82, s71                                    // 000000008EA4: 92524752
	s_mul_i32 s61, s60, s61                                    // 000000008EA8: 923D3D3C
	s_add_u32 s82, s82, s61                                    // 000000008EAC: 80523D52
	v_mul_lo_u32 v7, v4, s82                                   // 000000008EB0: D2850007 0000A504
	v_add_u32_e32 v63, v6, v7                                  // 000000008EB8: 687E0F06
	v_readlane_b32 s82, v3, 12                                 // 000000008EBC: D2890052 00011903
	s_lshr_b32 s61, s82, 24                                    // 000000008EC4: 8F3D9852
	s_and_b32 s82, s82, 0xffffff                               // 000000008EC8: 8652FF52 00FFFFFF
	s_mul_i32 s82, s82, s71                                    // 000000008ED0: 92524752
	s_mul_i32 s61, s60, s61                                    // 000000008ED4: 923D3D3C
	s_add_u32 s82, s82, s61                                    // 000000008ED8: 80523D52
	v_mul_lo_u32 v6, v5, s82                                   // 000000008EDC: D2850006 0000A505
	v_readlane_b32 s82, v3, 13                                 // 000000008EE4: D2890052 00011B03
	s_lshr_b32 s61, s82, 24                                    // 000000008EEC: 8F3D9852
	s_and_b32 s82, s82, 0xffffff                               // 000000008EF0: 8652FF52 00FFFFFF
	s_mul_i32 s82, s82, s71                                    // 000000008EF8: 92524752
	s_mul_i32 s61, s60, s61                                    // 000000008EFC: 923D3D3C
	s_add_u32 s82, s82, s61                                    // 000000008F00: 80523D52
	v_mul_lo_u32 v7, v4, s82                                   // 000000008F04: D2850007 0000A504
	v_add_u32_e32 v64, v6, v7                                  // 000000008F0C: 68800F06
	v_readlane_b32 s82, v3, 14                                 // 000000008F10: D2890052 00011D03
	s_lshr_b32 s61, s82, 24                                    // 000000008F18: 8F3D9852
	s_and_b32 s82, s82, 0xffffff                               // 000000008F1C: 8652FF52 00FFFFFF
	s_mul_i32 s82, s82, s71                                    // 000000008F24: 92524752
	s_mul_i32 s61, s60, s61                                    // 000000008F28: 923D3D3C
	s_add_u32 s82, s82, s61                                    // 000000008F2C: 80523D52
	v_mul_lo_u32 v6, v5, s82                                   // 000000008F30: D2850006 0000A505
	v_readlane_b32 s82, v3, 15                                 // 000000008F38: D2890052 00011F03
	s_lshr_b32 s61, s82, 24                                    // 000000008F40: 8F3D9852
	s_and_b32 s82, s82, 0xffffff                               // 000000008F44: 8652FF52 00FFFFFF
	s_mul_i32 s82, s82, s71                                    // 000000008F4C: 92524752
	s_mul_i32 s61, s60, s61                                    // 000000008F50: 923D3D3C
	s_add_u32 s82, s82, s61                                    // 000000008F54: 80523D52
	v_mul_lo_u32 v7, v4, s82                                   // 000000008F58: D2850007 0000A504
	v_add_u32_e32 v65, v6, v7                                  // 000000008F60: 68820F06
	v_readlane_b32 s82, v3, 16                                 // 000000008F64: D2890052 00012103
	s_lshr_b32 s61, s82, 24                                    // 000000008F6C: 8F3D9852
	s_and_b32 s82, s82, 0xffffff                               // 000000008F70: 8652FF52 00FFFFFF
	s_mul_i32 s82, s82, s71                                    // 000000008F78: 92524752
	s_mul_i32 s61, s60, s61                                    // 000000008F7C: 923D3D3C
	s_add_u32 s82, s82, s61                                    // 000000008F80: 80523D52
	v_mul_lo_u32 v6, v5, s82                                   // 000000008F84: D2850006 0000A505
	v_readlane_b32 s82, v3, 17                                 // 000000008F8C: D2890052 00012303
	s_lshr_b32 s61, s82, 24                                    // 000000008F94: 8F3D9852
	s_and_b32 s82, s82, 0xffffff                               // 000000008F98: 8652FF52 00FFFFFF
	s_mul_i32 s82, s82, s71                                    // 000000008FA0: 92524752
	s_mul_i32 s61, s60, s61                                    // 000000008FA4: 923D3D3C
	s_add_u32 s82, s82, s61                                    // 000000008FA8: 80523D52
	v_mul_lo_u32 v7, v4, s82                                   // 000000008FAC: D2850007 0000A504
	v_add_u32_e32 v66, v6, v7                                  // 000000008FB4: 68840F06
	v_readlane_b32 s82, v3, 18                                 // 000000008FB8: D2890052 00012503
	s_lshr_b32 s61, s82, 24                                    // 000000008FC0: 8F3D9852
	s_and_b32 s82, s82, 0xffffff                               // 000000008FC4: 8652FF52 00FFFFFF
	s_mul_i32 s82, s82, s71                                    // 000000008FCC: 92524752
	s_mul_i32 s61, s60, s61                                    // 000000008FD0: 923D3D3C
	s_add_u32 s82, s82, s61                                    // 000000008FD4: 80523D52
	v_mul_lo_u32 v6, v5, s82                                   // 000000008FD8: D2850006 0000A505
	v_readlane_b32 s82, v3, 19                                 // 000000008FE0: D2890052 00012703
	s_lshr_b32 s61, s82, 24                                    // 000000008FE8: 8F3D9852
	s_and_b32 s82, s82, 0xffffff                               // 000000008FEC: 8652FF52 00FFFFFF
	s_mul_i32 s82, s82, s71                                    // 000000008FF4: 92524752
	s_mul_i32 s61, s60, s61                                    // 000000008FF8: 923D3D3C
	s_add_u32 s82, s82, s61                                    // 000000008FFC: 80523D52
	v_mul_lo_u32 v7, v4, s82                                   // 000000009000: D2850007 0000A504
	v_add_u32_e32 v67, v6, v7                                  // 000000009008: 68860F06
	v_readlane_b32 s82, v3, 20                                 // 00000000900C: D2890052 00012903
	s_lshr_b32 s61, s82, 24                                    // 000000009014: 8F3D9852
	s_and_b32 s82, s82, 0xffffff                               // 000000009018: 8652FF52 00FFFFFF
	s_mul_i32 s82, s82, s71                                    // 000000009020: 92524752
	s_mul_i32 s61, s60, s61                                    // 000000009024: 923D3D3C
	s_add_u32 s82, s82, s61                                    // 000000009028: 80523D52
	v_mul_lo_u32 v6, v5, s82                                   // 00000000902C: D2850006 0000A505
	v_readlane_b32 s82, v3, 21                                 // 000000009034: D2890052 00012B03
	s_lshr_b32 s61, s82, 24                                    // 00000000903C: 8F3D9852
	s_and_b32 s82, s82, 0xffffff                               // 000000009040: 8652FF52 00FFFFFF
	s_mul_i32 s82, s82, s71                                    // 000000009048: 92524752
	s_mul_i32 s61, s60, s61                                    // 00000000904C: 923D3D3C
	s_add_u32 s82, s82, s61                                    // 000000009050: 80523D52
	v_mul_lo_u32 v7, v4, s82                                   // 000000009054: D2850007 0000A504
	v_add_u32_e32 v68, v6, v7                                  // 00000000905C: 68880F06
	v_readlane_b32 s82, v3, 22                                 // 000000009060: D2890052 00012D03
	s_lshr_b32 s61, s82, 24                                    // 000000009068: 8F3D9852
	s_and_b32 s82, s82, 0xffffff                               // 00000000906C: 8652FF52 00FFFFFF
	s_mul_i32 s82, s82, s71                                    // 000000009074: 92524752
	s_mul_i32 s61, s60, s61                                    // 000000009078: 923D3D3C
	s_add_u32 s82, s82, s61                                    // 00000000907C: 80523D52
	v_mul_lo_u32 v6, v5, s82                                   // 000000009080: D2850006 0000A505
	v_readlane_b32 s82, v3, 23                                 // 000000009088: D2890052 00012F03
	s_lshr_b32 s61, s82, 24                                    // 000000009090: 8F3D9852
	s_and_b32 s82, s82, 0xffffff                               // 000000009094: 8652FF52 00FFFFFF
	s_mul_i32 s82, s82, s71                                    // 00000000909C: 92524752
	s_mul_i32 s61, s60, s61                                    // 0000000090A0: 923D3D3C
	s_add_u32 s82, s82, s61                                    // 0000000090A4: 80523D52
	v_mul_lo_u32 v7, v4, s82                                   // 0000000090A8: D2850007 0000A504
	v_add_u32_e32 v69, v6, v7                                  // 0000000090B0: 688A0F06
	v_readlane_b32 s82, v3, 24                                 // 0000000090B4: D2890052 00013103
	s_lshr_b32 s61, s82, 24                                    // 0000000090BC: 8F3D9852
	s_and_b32 s82, s82, 0xffffff                               // 0000000090C0: 8652FF52 00FFFFFF
	s_mul_i32 s82, s82, s71                                    // 0000000090C8: 92524752
	s_mul_i32 s61, s60, s61                                    // 0000000090CC: 923D3D3C
	s_add_u32 s82, s82, s61                                    // 0000000090D0: 80523D52
	v_mul_lo_u32 v6, v5, s82                                   // 0000000090D4: D2850006 0000A505
	v_readlane_b32 s82, v3, 25                                 // 0000000090DC: D2890052 00013303
	s_lshr_b32 s61, s82, 24                                    // 0000000090E4: 8F3D9852
	s_and_b32 s82, s82, 0xffffff                               // 0000000090E8: 8652FF52 00FFFFFF
	s_mul_i32 s82, s82, s71                                    // 0000000090F0: 92524752
	s_mul_i32 s61, s60, s61                                    // 0000000090F4: 923D3D3C
	s_add_u32 s82, s82, s61                                    // 0000000090F8: 80523D52
	v_mul_lo_u32 v7, v4, s82                                   // 0000000090FC: D2850007 0000A504
	v_add_u32_e32 v70, v6, v7                                  // 000000009104: 688C0F06
	v_readlane_b32 s82, v3, 26                                 // 000000009108: D2890052 00013503
	s_lshr_b32 s61, s82, 24                                    // 000000009110: 8F3D9852
	s_and_b32 s82, s82, 0xffffff                               // 000000009114: 8652FF52 00FFFFFF
	s_mul_i32 s82, s82, s71                                    // 00000000911C: 92524752
	s_mul_i32 s61, s60, s61                                    // 000000009120: 923D3D3C
	s_add_u32 s82, s82, s61                                    // 000000009124: 80523D52
	v_mul_lo_u32 v6, v5, s82                                   // 000000009128: D2850006 0000A505
	v_readlane_b32 s82, v3, 27                                 // 000000009130: D2890052 00013703
	s_lshr_b32 s61, s82, 24                                    // 000000009138: 8F3D9852
	s_and_b32 s82, s82, 0xffffff                               // 00000000913C: 8652FF52 00FFFFFF
	s_mul_i32 s82, s82, s71                                    // 000000009144: 92524752
	s_mul_i32 s61, s60, s61                                    // 000000009148: 923D3D3C
	s_add_u32 s82, s82, s61                                    // 00000000914C: 80523D52
	v_mul_lo_u32 v7, v4, s82                                   // 000000009150: D2850007 0000A504
	v_add_u32_e32 v71, v6, v7                                  // 000000009158: 688E0F06
	v_and_b32_e32 v4, 31, v0                                   // 00000000915C: 2608009F
	v_lshrrev_b32_e32 v4, 1, v4                                // 000000009160: 20080881
	s_cmp_eq_u32 s88, 0                                        // 000000009164: BF068058
	s_cselect_b32 s61, 2, 4                                    // 000000009168: 853D8482
	v_mul_lo_u32 v4, v4, s61                                   // 00000000916C: D2850004 00007B04
	v_and_b32_e64 v5, v0, 1                                    // 000000009174: D1130005 00010300
	v_add_u32_e32 v4, v4, v5                                   // 00000000917C: 68080B04
	v_lshlrev_b32_e32 v4, 2, v4                                // 000000009180: 24080882
	v_add_u32_e32 v58, v58, v4                                 // 000000009184: 6874093A
	v_add_u32_e32 v59, v59, v4                                 // 000000009188: 6876093B
	v_add_u32_e32 v60, v60, v4                                 // 00000000918C: 6878093C
	v_add_u32_e32 v61, v61, v4                                 // 000000009190: 687A093D
	v_add_u32_e32 v62, v62, v4                                 // 000000009194: 687C093E
	v_add_u32_e32 v63, v63, v4                                 // 000000009198: 687E093F
	v_add_u32_e32 v64, v64, v4                                 // 00000000919C: 68800940
	v_add_u32_e32 v65, v65, v4                                 // 0000000091A0: 68820941
	v_add_u32_e32 v66, v66, v4                                 // 0000000091A4: 68840942
	v_add_u32_e32 v67, v67, v4                                 // 0000000091A8: 68860943
	v_add_u32_e32 v68, v68, v4                                 // 0000000091AC: 68880944
	v_add_u32_e32 v69, v69, v4                                 // 0000000091B0: 688A0945
	v_add_u32_e32 v70, v70, v4                                 // 0000000091B4: 688C0946
	v_add_u32_e32 v71, v71, v4                                 // 0000000091B8: 688E0947
	s_waitcnt lgkmcnt(0)                                       // 0000000091BC: BF8CC07F
	s_barrier                                                  // 0000000091C0: BF8A0000
	ds_read_b32 v76, v21                                       // 0000000091C4: D86C0000 4C000015
	ds_read_b32 v77, v21 offset:64                             // 0000000091CC: D86C0040 4D000015
	ds_read_b32 v78, v21 offset:2176                           // 0000000091D4: D86C0880 4E000015
	ds_read_b32 v79, v21 offset:2240                           // 0000000091DC: D86C08C0 4F000015
	ds_read_b32 v80, v21 offset:4352                           // 0000000091E4: D86C1100 50000015
	ds_read_b32 v81, v21 offset:4416                           // 0000000091EC: D86C1140 51000015
	ds_read_b32 v82, v21 offset:6528                           // 0000000091F4: D86C1980 52000015
	ds_read_b32 v83, v21 offset:6592                           // 0000000091FC: D86C19C0 53000015
	ds_read_b32 v84, v21 offset:8704                           // 000000009204: D86C2200 54000015
	ds_read_b32 v85, v21 offset:8768                           // 00000000920C: D86C2240 55000015
	ds_read_b32 v86, v21 offset:10880                          // 000000009214: D86C2A80 56000015
	ds_read_b32 v87, v21 offset:10944                          // 00000000921C: D86C2AC0 57000015
	ds_read_b32 v88, v21 offset:13056                          // 000000009224: D86C3300 58000015
	ds_read_b32 v89, v21 offset:13120                          // 00000000922C: D86C3340 59000015
	s_waitcnt lgkmcnt(0)                                       // 000000009234: BF8CC07F
	s_mov_b32 s36, -1                                          // 000000009238: BEA400C1
	s_mov_b32 s37, -1                                          // 00000000923C: BEA500C1
	v_mov_b32_e32 v7, 0                                        // 000000009240: 7E0E0280
	s_or_b32 s9, s9, 0x40000                                   // 000000009244: 8709FF09 00040000
	s_mov_b64 exec, s[36:37]                                   // 00000000924C: BEFE0124
	v_mov_b32_e32 v6, v58                                      // 000000009250: 7E0C033A
	s_mov_b64 s[60:61], 0                                      // 000000009254: BEBC0180
	v_readlane_b32 s82, v3, 0                                  // 000000009258: D2890052 00010103
	s_and_b32 s82, s82, 0xffffff                               // 000000009260: 8652FF52 00FFFFFF
	s_cmp_lt_u32 s82, s66                                      // 000000009268: BF0A4252
	s_cselect_b32 s20, s36, s60                                // 00000000926C: 85143C24
	v_readlane_b32 s82, v3, 1                                  // 000000009270: D2890052 00010303
	s_and_b32 s82, s82, 0xffffff                               // 000000009278: 8652FF52 00FFFFFF
	s_cmp_lt_u32 s82, s66                                      // 000000009280: BF0A4252
	s_cselect_b32 s21, s36, s60                                // 000000009284: 85153C24
	s_mov_b64 exec, s[20:21]                                   // 000000009288: BEFE0114
	buffer_store_dword v76, v6, s[8:11], 0 offen               // 00000000928C: E0701000 80024C06
	s_mov_b64 exec, s[36:37]                                   // 000000009294: BEFE0124
	v_mov_b32_e32 v6, v59                                      // 000000009298: 7E0C033B
	s_mov_b64 s[60:61], 0                                      // 00000000929C: BEBC0180
	v_readlane_b32 s82, v3, 2                                  // 0000000092A0: D2890052 00010503
	s_and_b32 s82, s82, 0xffffff                               // 0000000092A8: 8652FF52 00FFFFFF
	s_cmp_lt_u32 s82, s66                                      // 0000000092B0: BF0A4252
	s_cselect_b32 s20, s36, s60                                // 0000000092B4: 85143C24
	v_readlane_b32 s82, v3, 3                                  // 0000000092B8: D2890052 00010703
	s_and_b32 s82, s82, 0xffffff                               // 0000000092C0: 8652FF52 00FFFFFF
	s_cmp_lt_u32 s82, s66                                      // 0000000092C8: BF0A4252
	s_cselect_b32 s21, s36, s60                                // 0000000092CC: 85153C24
	s_mov_b64 exec, s[20:21]                                   // 0000000092D0: BEFE0114
	buffer_store_dword v77, v6, s[8:11], 0 offen               // 0000000092D4: E0701000 80024D06
	s_mov_b64 exec, s[36:37]                                   // 0000000092DC: BEFE0124
	v_mov_b32_e32 v6, v60                                      // 0000000092E0: 7E0C033C
	s_mov_b64 s[60:61], 0                                      // 0000000092E4: BEBC0180
	v_readlane_b32 s82, v3, 4                                  // 0000000092E8: D2890052 00010903
	s_and_b32 s82, s82, 0xffffff                               // 0000000092F0: 8652FF52 00FFFFFF
	s_cmp_lt_u32 s82, s66                                      // 0000000092F8: BF0A4252
	s_cselect_b32 s20, s36, s60                                // 0000000092FC: 85143C24
	v_readlane_b32 s82, v3, 5                                  // 000000009300: D2890052 00010B03
	s_and_b32 s82, s82, 0xffffff                               // 000000009308: 8652FF52 00FFFFFF
	s_cmp_lt_u32 s82, s66                                      // 000000009310: BF0A4252
	s_cselect_b32 s21, s36, s60                                // 000000009314: 85153C24
	s_mov_b64 exec, s[20:21]                                   // 000000009318: BEFE0114
	buffer_store_dword v78, v6, s[8:11], 0 offen               // 00000000931C: E0701000 80024E06
	s_mov_b64 exec, s[36:37]                                   // 000000009324: BEFE0124
	v_mov_b32_e32 v6, v61                                      // 000000009328: 7E0C033D
	s_mov_b64 s[60:61], 0                                      // 00000000932C: BEBC0180
	v_readlane_b32 s82, v3, 6                                  // 000000009330: D2890052 00010D03
	s_and_b32 s82, s82, 0xffffff                               // 000000009338: 8652FF52 00FFFFFF
	s_cmp_lt_u32 s82, s66                                      // 000000009340: BF0A4252
	s_cselect_b32 s20, s36, s60                                // 000000009344: 85143C24
	v_readlane_b32 s82, v3, 7                                  // 000000009348: D2890052 00010F03
	s_and_b32 s82, s82, 0xffffff                               // 000000009350: 8652FF52 00FFFFFF
	s_cmp_lt_u32 s82, s66                                      // 000000009358: BF0A4252
	s_cselect_b32 s21, s36, s60                                // 00000000935C: 85153C24
	s_mov_b64 exec, s[20:21]                                   // 000000009360: BEFE0114
	buffer_store_dword v79, v6, s[8:11], 0 offen               // 000000009364: E0701000 80024F06
	s_mov_b64 exec, s[36:37]                                   // 00000000936C: BEFE0124
	v_mov_b32_e32 v6, v62                                      // 000000009370: 7E0C033E
	s_mov_b64 s[60:61], 0                                      // 000000009374: BEBC0180
	v_readlane_b32 s82, v3, 8                                  // 000000009378: D2890052 00011103
	s_and_b32 s82, s82, 0xffffff                               // 000000009380: 8652FF52 00FFFFFF
	s_cmp_lt_u32 s82, s66                                      // 000000009388: BF0A4252
	s_cselect_b32 s20, s36, s60                                // 00000000938C: 85143C24
	v_readlane_b32 s82, v3, 9                                  // 000000009390: D2890052 00011303
	s_and_b32 s82, s82, 0xffffff                               // 000000009398: 8652FF52 00FFFFFF
	s_cmp_lt_u32 s82, s66                                      // 0000000093A0: BF0A4252
	s_cselect_b32 s21, s36, s60                                // 0000000093A4: 85153C24
	s_mov_b64 exec, s[20:21]                                   // 0000000093A8: BEFE0114
	buffer_store_dword v80, v6, s[8:11], 0 offen               // 0000000093AC: E0701000 80025006
	s_mov_b64 exec, s[36:37]                                   // 0000000093B4: BEFE0124
	v_mov_b32_e32 v6, v63                                      // 0000000093B8: 7E0C033F
	s_mov_b64 s[60:61], 0                                      // 0000000093BC: BEBC0180
	v_readlane_b32 s82, v3, 10                                 // 0000000093C0: D2890052 00011503
	s_and_b32 s82, s82, 0xffffff                               // 0000000093C8: 8652FF52 00FFFFFF
	s_cmp_lt_u32 s82, s66                                      // 0000000093D0: BF0A4252
	s_cselect_b32 s20, s36, s60                                // 0000000093D4: 85143C24
	v_readlane_b32 s82, v3, 11                                 // 0000000093D8: D2890052 00011703
	s_and_b32 s82, s82, 0xffffff                               // 0000000093E0: 8652FF52 00FFFFFF
	s_cmp_lt_u32 s82, s66                                      // 0000000093E8: BF0A4252
	s_cselect_b32 s21, s36, s60                                // 0000000093EC: 85153C24
	s_mov_b64 exec, s[20:21]                                   // 0000000093F0: BEFE0114
	buffer_store_dword v81, v6, s[8:11], 0 offen               // 0000000093F4: E0701000 80025106
	s_mov_b64 exec, s[36:37]                                   // 0000000093FC: BEFE0124
	v_mov_b32_e32 v6, v64                                      // 000000009400: 7E0C0340
	s_mov_b64 s[60:61], 0                                      // 000000009404: BEBC0180
	v_readlane_b32 s82, v3, 12                                 // 000000009408: D2890052 00011903
	s_and_b32 s82, s82, 0xffffff                               // 000000009410: 8652FF52 00FFFFFF
	s_cmp_lt_u32 s82, s66                                      // 000000009418: BF0A4252
	s_cselect_b32 s20, s36, s60                                // 00000000941C: 85143C24
	v_readlane_b32 s82, v3, 13                                 // 000000009420: D2890052 00011B03
	s_and_b32 s82, s82, 0xffffff                               // 000000009428: 8652FF52 00FFFFFF
	s_cmp_lt_u32 s82, s66                                      // 000000009430: BF0A4252
	s_cselect_b32 s21, s36, s60                                // 000000009434: 85153C24
	s_mov_b64 exec, s[20:21]                                   // 000000009438: BEFE0114
	buffer_store_dword v82, v6, s[8:11], 0 offen               // 00000000943C: E0701000 80025206
	s_mov_b64 exec, s[36:37]                                   // 000000009444: BEFE0124
	v_mov_b32_e32 v6, v65                                      // 000000009448: 7E0C0341
	s_mov_b64 s[60:61], 0                                      // 00000000944C: BEBC0180
	v_readlane_b32 s82, v3, 14                                 // 000000009450: D2890052 00011D03
	s_and_b32 s82, s82, 0xffffff                               // 000000009458: 8652FF52 00FFFFFF
	s_cmp_lt_u32 s82, s66                                      // 000000009460: BF0A4252
	s_cselect_b32 s20, s36, s60                                // 000000009464: 85143C24
	v_readlane_b32 s82, v3, 15                                 // 000000009468: D2890052 00011F03
	s_and_b32 s82, s82, 0xffffff                               // 000000009470: 8652FF52 00FFFFFF
	s_cmp_lt_u32 s82, s66                                      // 000000009478: BF0A4252
	s_cselect_b32 s21, s36, s60                                // 00000000947C: 85153C24
	s_mov_b64 exec, s[20:21]                                   // 000000009480: BEFE0114
	buffer_store_dword v83, v6, s[8:11], 0 offen               // 000000009484: E0701000 80025306
	s_mov_b64 exec, s[36:37]                                   // 00000000948C: BEFE0124
	v_mov_b32_e32 v6, v66                                      // 000000009490: 7E0C0342
	s_mov_b64 s[60:61], 0                                      // 000000009494: BEBC0180
	v_readlane_b32 s82, v3, 16                                 // 000000009498: D2890052 00012103
	s_and_b32 s82, s82, 0xffffff                               // 0000000094A0: 8652FF52 00FFFFFF
	s_cmp_lt_u32 s82, s66                                      // 0000000094A8: BF0A4252
	s_cselect_b32 s20, s36, s60                                // 0000000094AC: 85143C24
	v_readlane_b32 s82, v3, 17                                 // 0000000094B0: D2890052 00012303
	s_and_b32 s82, s82, 0xffffff                               // 0000000094B8: 8652FF52 00FFFFFF
	s_cmp_lt_u32 s82, s66                                      // 0000000094C0: BF0A4252
	s_cselect_b32 s21, s36, s60                                // 0000000094C4: 85153C24
	s_mov_b64 exec, s[20:21]                                   // 0000000094C8: BEFE0114
	buffer_store_dword v84, v6, s[8:11], 0 offen               // 0000000094CC: E0701000 80025406
	s_mov_b64 exec, s[36:37]                                   // 0000000094D4: BEFE0124
	v_mov_b32_e32 v6, v67                                      // 0000000094D8: 7E0C0343
	s_mov_b64 s[60:61], 0                                      // 0000000094DC: BEBC0180
	v_readlane_b32 s82, v3, 18                                 // 0000000094E0: D2890052 00012503
	s_and_b32 s82, s82, 0xffffff                               // 0000000094E8: 8652FF52 00FFFFFF
	s_cmp_lt_u32 s82, s66                                      // 0000000094F0: BF0A4252
	s_cselect_b32 s20, s36, s60                                // 0000000094F4: 85143C24
	v_readlane_b32 s82, v3, 19                                 // 0000000094F8: D2890052 00012703
	s_and_b32 s82, s82, 0xffffff                               // 000000009500: 8652FF52 00FFFFFF
	s_cmp_lt_u32 s82, s66                                      // 000000009508: BF0A4252
	s_cselect_b32 s21, s36, s60                                // 00000000950C: 85153C24
	s_mov_b64 exec, s[20:21]                                   // 000000009510: BEFE0114
	buffer_store_dword v85, v6, s[8:11], 0 offen               // 000000009514: E0701000 80025506
	s_mov_b64 exec, s[36:37]                                   // 00000000951C: BEFE0124
	v_mov_b32_e32 v6, v68                                      // 000000009520: 7E0C0344
	s_mov_b64 s[60:61], 0                                      // 000000009524: BEBC0180
	v_readlane_b32 s82, v3, 20                                 // 000000009528: D2890052 00012903
	s_and_b32 s82, s82, 0xffffff                               // 000000009530: 8652FF52 00FFFFFF
	s_cmp_lt_u32 s82, s66                                      // 000000009538: BF0A4252
	s_cselect_b32 s20, s36, s60                                // 00000000953C: 85143C24
	v_readlane_b32 s82, v3, 21                                 // 000000009540: D2890052 00012B03
	s_and_b32 s82, s82, 0xffffff                               // 000000009548: 8652FF52 00FFFFFF
	s_cmp_lt_u32 s82, s66                                      // 000000009550: BF0A4252
	s_cselect_b32 s21, s36, s60                                // 000000009554: 85153C24
	s_mov_b64 exec, s[20:21]                                   // 000000009558: BEFE0114
	buffer_store_dword v86, v6, s[8:11], 0 offen               // 00000000955C: E0701000 80025606
	s_mov_b64 exec, s[36:37]                                   // 000000009564: BEFE0124
	v_mov_b32_e32 v6, v69                                      // 000000009568: 7E0C0345
	s_mov_b64 s[60:61], 0                                      // 00000000956C: BEBC0180
	v_readlane_b32 s82, v3, 22                                 // 000000009570: D2890052 00012D03
	s_and_b32 s82, s82, 0xffffff                               // 000000009578: 8652FF52 00FFFFFF
	s_cmp_lt_u32 s82, s66                                      // 000000009580: BF0A4252
	s_cselect_b32 s20, s36, s60                                // 000000009584: 85143C24
	v_readlane_b32 s82, v3, 23                                 // 000000009588: D2890052 00012F03
	s_and_b32 s82, s82, 0xffffff                               // 000000009590: 8652FF52 00FFFFFF
	s_cmp_lt_u32 s82, s66                                      // 000000009598: BF0A4252
	s_cselect_b32 s21, s36, s60                                // 00000000959C: 85153C24
	s_mov_b64 exec, s[20:21]                                   // 0000000095A0: BEFE0114
	buffer_store_dword v87, v6, s[8:11], 0 offen               // 0000000095A4: E0701000 80025706
	s_mov_b64 exec, s[36:37]                                   // 0000000095AC: BEFE0124
	v_mov_b32_e32 v6, v70                                      // 0000000095B0: 7E0C0346
	s_mov_b64 s[60:61], 0                                      // 0000000095B4: BEBC0180
	v_readlane_b32 s82, v3, 24                                 // 0000000095B8: D2890052 00013103
	s_and_b32 s82, s82, 0xffffff                               // 0000000095C0: 8652FF52 00FFFFFF
	s_cmp_lt_u32 s82, s66                                      // 0000000095C8: BF0A4252
	s_cselect_b32 s20, s36, s60                                // 0000000095CC: 85143C24
	v_readlane_b32 s82, v3, 25                                 // 0000000095D0: D2890052 00013303
	s_and_b32 s82, s82, 0xffffff                               // 0000000095D8: 8652FF52 00FFFFFF
	s_cmp_lt_u32 s82, s66                                      // 0000000095E0: BF0A4252
	s_cselect_b32 s21, s36, s60                                // 0000000095E4: 85153C24
	s_mov_b64 exec, s[20:21]                                   // 0000000095E8: BEFE0114
	buffer_store_dword v88, v6, s[8:11], 0 offen               // 0000000095EC: E0701000 80025806
	s_mov_b64 exec, s[36:37]                                   // 0000000095F4: BEFE0124
	v_mov_b32_e32 v6, v71                                      // 0000000095F8: 7E0C0347
	s_mov_b64 s[60:61], 0                                      // 0000000095FC: BEBC0180
	v_readlane_b32 s82, v3, 26                                 // 000000009600: D2890052 00013503
	s_and_b32 s82, s82, 0xffffff                               // 000000009608: 8652FF52 00FFFFFF
	s_cmp_lt_u32 s82, s66                                      // 000000009610: BF0A4252
	s_cselect_b32 s20, s36, s60                                // 000000009614: 85143C24
	v_readlane_b32 s82, v3, 27                                 // 000000009618: D2890052 00013703
	s_and_b32 s82, s82, 0xffffff                               // 000000009620: 8652FF52 00FFFFFF
	s_cmp_lt_u32 s82, s66                                      // 000000009628: BF0A4252
	s_cselect_b32 s21, s36, s60                                // 00000000962C: 85153C24
	s_mov_b64 exec, s[20:21]                                   // 000000009630: BEFE0114
	buffer_store_dword v89, v6, s[8:11], 0 offen               // 000000009634: E0701000 80025906
	s_mov_b64 exec, s[36:37]                                   // 00000000963C: BEFE0124
	s_cmp_eq_u32 s7, 0                                         // 000000009640: BF068007
	s_cbranch_scc0 label_4190                                  // 000000009644: BF84267B
	s_waitcnt vmcnt(14)                                        // 000000009648: BF8C0F7E
	s_mov_b32 s8, s90                                          // 00000000964C: BE88005A
	s_mov_b32 s9, s91                                          // 000000009650: BE89005B
	s_mul_i32 s60, s66, s71                                    // 000000009654: 923C4742
	s_add_u32 s8, s60, s8                                      // 000000009658: 8008083C
	s_addc_u32 s9, 0, s9                                       // 00000000965C: 82090980
	s_lshr_b32 s71, s71, 5                                     // 000000009660: 8F478547
	s_mul_i32 s60, s66, s71                                    // 000000009664: 923C4742
	s_mov_b32 s10, s60                                         // 000000009668: BE8A003C
	s_lshr_b32 s61, s65, 5                                     // 00000000966C: 8F3D8541
	s_mul_i32 s60, s2, 4                                       // 000000009670: 923C8402
	v_lshrrev_b32_e32 v4, 24, v30                              // 000000009674: 20083C98
	v_mul_lo_u32 v4, s61, v4                                   // 000000009678: D2850004 0002083D
	v_and_b32_e32 v30, 0xffffff, v30                           // 000000009680: 263C3CFF 00FFFFFF
	v_mul_lo_u32 v30, s71, v30                                 // 000000009688: D285001E 00023C47
	v_add_u32_e32 v30, v4, v30                                 // 000000009690: 683C3D04
	v_add_u32_e32 v30, s60, v30                                // 000000009694: 683C3C3C
	v_lshrrev_b32_e32 v4, 24, v31                              // 000000009698: 20083E98
	v_mul_lo_u32 v4, s61, v4                                   // 00000000969C: D2850004 0002083D
	v_and_b32_e32 v31, 0xffffff, v31                           // 0000000096A4: 263E3EFF 00FFFFFF
	v_mul_lo_u32 v31, s71, v31                                 // 0000000096AC: D285001F 00023E47
	v_add_u32_e32 v31, v4, v31                                 // 0000000096B4: 683E3F04
	v_add_u32_e32 v31, s60, v31                                // 0000000096B8: 683E3E3C
	v_lshrrev_b32_e32 v4, 24, v32                              // 0000000096BC: 20084098
	v_mul_lo_u32 v4, s61, v4                                   // 0000000096C0: D2850004 0002083D
	v_and_b32_e32 v32, 0xffffff, v32                           // 0000000096C8: 264040FF 00FFFFFF
	v_mul_lo_u32 v32, s71, v32                                 // 0000000096D0: D2850020 00024047
	v_add_u32_e32 v32, v4, v32                                 // 0000000096D8: 68404104
	v_add_u32_e32 v32, s60, v32                                // 0000000096DC: 6840403C
	v_lshrrev_b32_e32 v4, 24, v33                              // 0000000096E0: 20084298
	v_mul_lo_u32 v4, s61, v4                                   // 0000000096E4: D2850004 0002083D
	v_and_b32_e32 v33, 0xffffff, v33                           // 0000000096EC: 264242FF 00FFFFFF
	v_mul_lo_u32 v33, s71, v33                                 // 0000000096F4: D2850021 00024247
	v_add_u32_e32 v33, v4, v33                                 // 0000000096FC: 68424304
	v_add_u32_e32 v33, s60, v33                                // 000000009700: 6842423C
	v_lshrrev_b32_e32 v4, 24, v34                              // 000000009704: 20084498
	v_mul_lo_u32 v4, s61, v4                                   // 000000009708: D2850004 0002083D
	v_and_b32_e32 v34, 0xffffff, v34                           // 000000009710: 264444FF 00FFFFFF
	v_mul_lo_u32 v34, s71, v34                                 // 000000009718: D2850022 00024447
	v_add_u32_e32 v34, v4, v34                                 // 000000009720: 68444504
	v_add_u32_e32 v34, s60, v34                                // 000000009724: 6844443C
	v_lshrrev_b32_e32 v4, 24, v35                              // 000000009728: 20084698
	v_mul_lo_u32 v4, s61, v4                                   // 00000000972C: D2850004 0002083D
	v_and_b32_e32 v35, 0xffffff, v35                           // 000000009734: 264646FF 00FFFFFF
	v_mul_lo_u32 v35, s71, v35                                 // 00000000973C: D2850023 00024647
	v_add_u32_e32 v35, v4, v35                                 // 000000009744: 68464704
	v_add_u32_e32 v35, s60, v35                                // 000000009748: 6846463C
	v_lshrrev_b32_e32 v4, 24, v36                              // 00000000974C: 20084898
	v_mul_lo_u32 v4, s61, v4                                   // 000000009750: D2850004 0002083D
	v_and_b32_e32 v36, 0xffffff, v36                           // 000000009758: 264848FF 00FFFFFF
	v_mul_lo_u32 v36, s71, v36                                 // 000000009760: D2850024 00024847
	v_add_u32_e32 v36, v4, v36                                 // 000000009768: 68484904
	v_add_u32_e32 v36, s60, v36                                // 00000000976C: 6848483C
	s_mov_b64 exec, 0xffff                                     // 000000009770: BEFE01FF 0000FFFF
	buffer_store_dword v132, v30, s[8:11], 0 offen             // 000000009778: E0701000 8002841E
	buffer_store_dword v133, v31, s[8:11], 0 offen             // 000000009780: E0701000 8002851F
	buffer_store_dword v134, v32, s[8:11], 0 offen             // 000000009788: E0701000 80028620
	buffer_store_dword v135, v33, s[8:11], 0 offen             // 000000009790: E0701000 80028721
	;; [unrolled: 1-line block ×3, first 2 shown]
	buffer_store_dword v137, v35, s[8:11], 0 offen             // 0000000097A0: E0701000 80028923
	buffer_store_dword v138, v36, s[8:11], 0 offen             // 0000000097A8: E0701000 80028A24
	s_mov_b64 exec, s[36:37]                                   // 0000000097B0: BEFE0124
	s_branch label_4190                                        // 0000000097B4: BF82261F

00000000000097b8 <label_1B6E>:
	ds_write_b64 v20, v[76:77]                                 // 0000000097B8: D89A0000 00004C14
	ds_write_b64 v20, v[80:81] offset:4352                     // 0000000097C0: D89A1100 00005014
	ds_write_b64 v20, v[84:85] offset:8704                     // 0000000097C8: D89A2200 00005414
	ds_write_b64 v20, v[88:89] offset:13056                    // 0000000097D0: D89A3300 00005814
	ds_write_b64 v20, v[92:93] offset:17408                    // 0000000097D8: D89A4400 00005C14
	ds_write_b64 v20, v[96:97] offset:21760                    // 0000000097E0: D89A5500 00006014
	ds_write_b64 v20, v[100:101] offset:26112                  // 0000000097E8: D89A6600 00006414
	ds_write_b64 v20, v[104:105] offset:2176                   // 0000000097F0: D89A0880 00006814
	ds_write_b64 v20, v[108:109] offset:6528                   // 0000000097F8: D89A1980 00006C14
	ds_write_b64 v20, v[112:113] offset:10880                  // 000000009800: D89A2A80 00007014
	ds_write_b64 v20, v[116:117] offset:15232                  // 000000009808: D89A3B80 00007414
	ds_write_b64 v20, v[120:121] offset:19584                  // 000000009810: D89A4C80 00007814
	ds_write_b64 v20, v[124:125] offset:23936                  // 000000009818: D89A5D80 00007C14
	ds_write_b64 v20, v[128:129] offset:28288                  // 000000009820: D89A6E80 00008014
	v_lshrrev_b32_e32 v4, 5, v0                                // 000000009828: 20080085
	v_xor_b32_e32 v5, 1, v4                                    // 00000000982C: 2A0A0881
	s_mul_i32 s60, s65, 1                                      // 000000009830: 923C8141
	s_cmp_eq_u32 s88, 0                                        // 000000009834: BF068058
	s_cselect_b32 s61, 1, 8                                    // 000000009838: 853D8881
	s_mul_i32 s60, s61, s60                                    // 00000000983C: 923C3C3D
	v_readlane_b32 s82, v3, 0                                  // 000000009840: D2890052 00010103
	s_lshr_b32 s61, s82, 24                                    // 000000009848: 8F3D9852
	s_and_b32 s82, s82, 0xffffff                               // 00000000984C: 8652FF52 00FFFFFF
	s_mul_i32 s82, s82, s71                                    // 000000009854: 92524752
	s_mul_i32 s61, s60, s61                                    // 000000009858: 923D3D3C
	s_add_u32 s82, s82, s61                                    // 00000000985C: 80523D52
	v_mul_lo_u32 v6, v5, s82                                   // 000000009860: D2850006 0000A505
	v_readlane_b32 s82, v3, 1                                  // 000000009868: D2890052 00010303
	s_lshr_b32 s61, s82, 24                                    // 000000009870: 8F3D9852
	s_and_b32 s82, s82, 0xffffff                               // 000000009874: 8652FF52 00FFFFFF
	s_mul_i32 s82, s82, s71                                    // 00000000987C: 92524752
	s_mul_i32 s61, s60, s61                                    // 000000009880: 923D3D3C
	s_add_u32 s82, s82, s61                                    // 000000009884: 80523D52
	v_mul_lo_u32 v7, v4, s82                                   // 000000009888: D2850007 0000A504
	v_add_u32_e32 v58, v6, v7                                  // 000000009890: 68740F06
	v_readlane_b32 s82, v3, 2                                  // 000000009894: D2890052 00010503
	s_lshr_b32 s61, s82, 24                                    // 00000000989C: 8F3D9852
	s_and_b32 s82, s82, 0xffffff                               // 0000000098A0: 8652FF52 00FFFFFF
	s_mul_i32 s82, s82, s71                                    // 0000000098A8: 92524752
	s_mul_i32 s61, s60, s61                                    // 0000000098AC: 923D3D3C
	s_add_u32 s82, s82, s61                                    // 0000000098B0: 80523D52
	v_mul_lo_u32 v6, v5, s82                                   // 0000000098B4: D2850006 0000A505
	v_readlane_b32 s82, v3, 3                                  // 0000000098BC: D2890052 00010703
	s_lshr_b32 s61, s82, 24                                    // 0000000098C4: 8F3D9852
	s_and_b32 s82, s82, 0xffffff                               // 0000000098C8: 8652FF52 00FFFFFF
	s_mul_i32 s82, s82, s71                                    // 0000000098D0: 92524752
	s_mul_i32 s61, s60, s61                                    // 0000000098D4: 923D3D3C
	s_add_u32 s82, s82, s61                                    // 0000000098D8: 80523D52
	v_mul_lo_u32 v7, v4, s82                                   // 0000000098DC: D2850007 0000A504
	v_add_u32_e32 v59, v6, v7                                  // 0000000098E4: 68760F06
	v_readlane_b32 s82, v3, 4                                  // 0000000098E8: D2890052 00010903
	s_lshr_b32 s61, s82, 24                                    // 0000000098F0: 8F3D9852
	s_and_b32 s82, s82, 0xffffff                               // 0000000098F4: 8652FF52 00FFFFFF
	s_mul_i32 s82, s82, s71                                    // 0000000098FC: 92524752
	s_mul_i32 s61, s60, s61                                    // 000000009900: 923D3D3C
	s_add_u32 s82, s82, s61                                    // 000000009904: 80523D52
	v_mul_lo_u32 v6, v5, s82                                   // 000000009908: D2850006 0000A505
	v_readlane_b32 s82, v3, 5                                  // 000000009910: D2890052 00010B03
	s_lshr_b32 s61, s82, 24                                    // 000000009918: 8F3D9852
	s_and_b32 s82, s82, 0xffffff                               // 00000000991C: 8652FF52 00FFFFFF
	s_mul_i32 s82, s82, s71                                    // 000000009924: 92524752
	s_mul_i32 s61, s60, s61                                    // 000000009928: 923D3D3C
	s_add_u32 s82, s82, s61                                    // 00000000992C: 80523D52
	v_mul_lo_u32 v7, v4, s82                                   // 000000009930: D2850007 0000A504
	v_add_u32_e32 v60, v6, v7                                  // 000000009938: 68780F06
	v_readlane_b32 s82, v3, 6                                  // 00000000993C: D2890052 00010D03
	s_lshr_b32 s61, s82, 24                                    // 000000009944: 8F3D9852
	s_and_b32 s82, s82, 0xffffff                               // 000000009948: 8652FF52 00FFFFFF
	s_mul_i32 s82, s82, s71                                    // 000000009950: 92524752
	s_mul_i32 s61, s60, s61                                    // 000000009954: 923D3D3C
	s_add_u32 s82, s82, s61                                    // 000000009958: 80523D52
	v_mul_lo_u32 v6, v5, s82                                   // 00000000995C: D2850006 0000A505
	v_readlane_b32 s82, v3, 7                                  // 000000009964: D2890052 00010F03
	s_lshr_b32 s61, s82, 24                                    // 00000000996C: 8F3D9852
	s_and_b32 s82, s82, 0xffffff                               // 000000009970: 8652FF52 00FFFFFF
	s_mul_i32 s82, s82, s71                                    // 000000009978: 92524752
	s_mul_i32 s61, s60, s61                                    // 00000000997C: 923D3D3C
	s_add_u32 s82, s82, s61                                    // 000000009980: 80523D52
	v_mul_lo_u32 v7, v4, s82                                   // 000000009984: D2850007 0000A504
	v_add_u32_e32 v61, v6, v7                                  // 00000000998C: 687A0F06
	v_readlane_b32 s82, v3, 8                                  // 000000009990: D2890052 00011103
	s_lshr_b32 s61, s82, 24                                    // 000000009998: 8F3D9852
	s_and_b32 s82, s82, 0xffffff                               // 00000000999C: 8652FF52 00FFFFFF
	s_mul_i32 s82, s82, s71                                    // 0000000099A4: 92524752
	s_mul_i32 s61, s60, s61                                    // 0000000099A8: 923D3D3C
	s_add_u32 s82, s82, s61                                    // 0000000099AC: 80523D52
	v_mul_lo_u32 v6, v5, s82                                   // 0000000099B0: D2850006 0000A505
	v_readlane_b32 s82, v3, 9                                  // 0000000099B8: D2890052 00011303
	s_lshr_b32 s61, s82, 24                                    // 0000000099C0: 8F3D9852
	s_and_b32 s82, s82, 0xffffff                               // 0000000099C4: 8652FF52 00FFFFFF
	s_mul_i32 s82, s82, s71                                    // 0000000099CC: 92524752
	s_mul_i32 s61, s60, s61                                    // 0000000099D0: 923D3D3C
	s_add_u32 s82, s82, s61                                    // 0000000099D4: 80523D52
	v_mul_lo_u32 v7, v4, s82                                   // 0000000099D8: D2850007 0000A504
	v_add_u32_e32 v62, v6, v7                                  // 0000000099E0: 687C0F06
	v_readlane_b32 s82, v3, 10                                 // 0000000099E4: D2890052 00011503
	s_lshr_b32 s61, s82, 24                                    // 0000000099EC: 8F3D9852
	s_and_b32 s82, s82, 0xffffff                               // 0000000099F0: 8652FF52 00FFFFFF
	s_mul_i32 s82, s82, s71                                    // 0000000099F8: 92524752
	s_mul_i32 s61, s60, s61                                    // 0000000099FC: 923D3D3C
	s_add_u32 s82, s82, s61                                    // 000000009A00: 80523D52
	v_mul_lo_u32 v6, v5, s82                                   // 000000009A04: D2850006 0000A505
	v_readlane_b32 s82, v3, 11                                 // 000000009A0C: D2890052 00011703
	s_lshr_b32 s61, s82, 24                                    // 000000009A14: 8F3D9852
	s_and_b32 s82, s82, 0xffffff                               // 000000009A18: 8652FF52 00FFFFFF
	s_mul_i32 s82, s82, s71                                    // 000000009A20: 92524752
	s_mul_i32 s61, s60, s61                                    // 000000009A24: 923D3D3C
	s_add_u32 s82, s82, s61                                    // 000000009A28: 80523D52
	v_mul_lo_u32 v7, v4, s82                                   // 000000009A2C: D2850007 0000A504
	v_add_u32_e32 v63, v6, v7                                  // 000000009A34: 687E0F06
	v_readlane_b32 s82, v3, 12                                 // 000000009A38: D2890052 00011903
	s_lshr_b32 s61, s82, 24                                    // 000000009A40: 8F3D9852
	s_and_b32 s82, s82, 0xffffff                               // 000000009A44: 8652FF52 00FFFFFF
	s_mul_i32 s82, s82, s71                                    // 000000009A4C: 92524752
	s_mul_i32 s61, s60, s61                                    // 000000009A50: 923D3D3C
	s_add_u32 s82, s82, s61                                    // 000000009A54: 80523D52
	v_mul_lo_u32 v6, v5, s82                                   // 000000009A58: D2850006 0000A505
	v_readlane_b32 s82, v3, 13                                 // 000000009A60: D2890052 00011B03
	s_lshr_b32 s61, s82, 24                                    // 000000009A68: 8F3D9852
	s_and_b32 s82, s82, 0xffffff                               // 000000009A6C: 8652FF52 00FFFFFF
	s_mul_i32 s82, s82, s71                                    // 000000009A74: 92524752
	s_mul_i32 s61, s60, s61                                    // 000000009A78: 923D3D3C
	s_add_u32 s82, s82, s61                                    // 000000009A7C: 80523D52
	v_mul_lo_u32 v7, v4, s82                                   // 000000009A80: D2850007 0000A504
	v_add_u32_e32 v64, v6, v7                                  // 000000009A88: 68800F06
	v_readlane_b32 s82, v3, 14                                 // 000000009A8C: D2890052 00011D03
	s_lshr_b32 s61, s82, 24                                    // 000000009A94: 8F3D9852
	s_and_b32 s82, s82, 0xffffff                               // 000000009A98: 8652FF52 00FFFFFF
	s_mul_i32 s82, s82, s71                                    // 000000009AA0: 92524752
	s_mul_i32 s61, s60, s61                                    // 000000009AA4: 923D3D3C
	s_add_u32 s82, s82, s61                                    // 000000009AA8: 80523D52
	v_mul_lo_u32 v6, v5, s82                                   // 000000009AAC: D2850006 0000A505
	v_readlane_b32 s82, v3, 15                                 // 000000009AB4: D2890052 00011F03
	s_lshr_b32 s61, s82, 24                                    // 000000009ABC: 8F3D9852
	s_and_b32 s82, s82, 0xffffff                               // 000000009AC0: 8652FF52 00FFFFFF
	s_mul_i32 s82, s82, s71                                    // 000000009AC8: 92524752
	s_mul_i32 s61, s60, s61                                    // 000000009ACC: 923D3D3C
	s_add_u32 s82, s82, s61                                    // 000000009AD0: 80523D52
	v_mul_lo_u32 v7, v4, s82                                   // 000000009AD4: D2850007 0000A504
	v_add_u32_e32 v65, v6, v7                                  // 000000009ADC: 68820F06
	v_readlane_b32 s82, v3, 16                                 // 000000009AE0: D2890052 00012103
	s_lshr_b32 s61, s82, 24                                    // 000000009AE8: 8F3D9852
	s_and_b32 s82, s82, 0xffffff                               // 000000009AEC: 8652FF52 00FFFFFF
	s_mul_i32 s82, s82, s71                                    // 000000009AF4: 92524752
	s_mul_i32 s61, s60, s61                                    // 000000009AF8: 923D3D3C
	s_add_u32 s82, s82, s61                                    // 000000009AFC: 80523D52
	v_mul_lo_u32 v6, v5, s82                                   // 000000009B00: D2850006 0000A505
	v_readlane_b32 s82, v3, 17                                 // 000000009B08: D2890052 00012303
	s_lshr_b32 s61, s82, 24                                    // 000000009B10: 8F3D9852
	s_and_b32 s82, s82, 0xffffff                               // 000000009B14: 8652FF52 00FFFFFF
	s_mul_i32 s82, s82, s71                                    // 000000009B1C: 92524752
	s_mul_i32 s61, s60, s61                                    // 000000009B20: 923D3D3C
	s_add_u32 s82, s82, s61                                    // 000000009B24: 80523D52
	v_mul_lo_u32 v7, v4, s82                                   // 000000009B28: D2850007 0000A504
	v_add_u32_e32 v66, v6, v7                                  // 000000009B30: 68840F06
	v_readlane_b32 s82, v3, 18                                 // 000000009B34: D2890052 00012503
	s_lshr_b32 s61, s82, 24                                    // 000000009B3C: 8F3D9852
	s_and_b32 s82, s82, 0xffffff                               // 000000009B40: 8652FF52 00FFFFFF
	s_mul_i32 s82, s82, s71                                    // 000000009B48: 92524752
	s_mul_i32 s61, s60, s61                                    // 000000009B4C: 923D3D3C
	s_add_u32 s82, s82, s61                                    // 000000009B50: 80523D52
	v_mul_lo_u32 v6, v5, s82                                   // 000000009B54: D2850006 0000A505
	v_readlane_b32 s82, v3, 19                                 // 000000009B5C: D2890052 00012703
	s_lshr_b32 s61, s82, 24                                    // 000000009B64: 8F3D9852
	s_and_b32 s82, s82, 0xffffff                               // 000000009B68: 8652FF52 00FFFFFF
	s_mul_i32 s82, s82, s71                                    // 000000009B70: 92524752
	s_mul_i32 s61, s60, s61                                    // 000000009B74: 923D3D3C
	s_add_u32 s82, s82, s61                                    // 000000009B78: 80523D52
	v_mul_lo_u32 v7, v4, s82                                   // 000000009B7C: D2850007 0000A504
	v_add_u32_e32 v67, v6, v7                                  // 000000009B84: 68860F06
	v_readlane_b32 s82, v3, 20                                 // 000000009B88: D2890052 00012903
	s_lshr_b32 s61, s82, 24                                    // 000000009B90: 8F3D9852
	s_and_b32 s82, s82, 0xffffff                               // 000000009B94: 8652FF52 00FFFFFF
	s_mul_i32 s82, s82, s71                                    // 000000009B9C: 92524752
	s_mul_i32 s61, s60, s61                                    // 000000009BA0: 923D3D3C
	s_add_u32 s82, s82, s61                                    // 000000009BA4: 80523D52
	v_mul_lo_u32 v6, v5, s82                                   // 000000009BA8: D2850006 0000A505
	v_readlane_b32 s82, v3, 21                                 // 000000009BB0: D2890052 00012B03
	s_lshr_b32 s61, s82, 24                                    // 000000009BB8: 8F3D9852
	s_and_b32 s82, s82, 0xffffff                               // 000000009BBC: 8652FF52 00FFFFFF
	s_mul_i32 s82, s82, s71                                    // 000000009BC4: 92524752
	s_mul_i32 s61, s60, s61                                    // 000000009BC8: 923D3D3C
	s_add_u32 s82, s82, s61                                    // 000000009BCC: 80523D52
	v_mul_lo_u32 v7, v4, s82                                   // 000000009BD0: D2850007 0000A504
	v_add_u32_e32 v68, v6, v7                                  // 000000009BD8: 68880F06
	v_readlane_b32 s82, v3, 22                                 // 000000009BDC: D2890052 00012D03
	s_lshr_b32 s61, s82, 24                                    // 000000009BE4: 8F3D9852
	s_and_b32 s82, s82, 0xffffff                               // 000000009BE8: 8652FF52 00FFFFFF
	s_mul_i32 s82, s82, s71                                    // 000000009BF0: 92524752
	s_mul_i32 s61, s60, s61                                    // 000000009BF4: 923D3D3C
	s_add_u32 s82, s82, s61                                    // 000000009BF8: 80523D52
	v_mul_lo_u32 v6, v5, s82                                   // 000000009BFC: D2850006 0000A505
	v_readlane_b32 s82, v3, 23                                 // 000000009C04: D2890052 00012F03
	s_lshr_b32 s61, s82, 24                                    // 000000009C0C: 8F3D9852
	s_and_b32 s82, s82, 0xffffff                               // 000000009C10: 8652FF52 00FFFFFF
	s_mul_i32 s82, s82, s71                                    // 000000009C18: 92524752
	s_mul_i32 s61, s60, s61                                    // 000000009C1C: 923D3D3C
	s_add_u32 s82, s82, s61                                    // 000000009C20: 80523D52
	v_mul_lo_u32 v7, v4, s82                                   // 000000009C24: D2850007 0000A504
	v_add_u32_e32 v69, v6, v7                                  // 000000009C2C: 688A0F06
	v_readlane_b32 s82, v3, 24                                 // 000000009C30: D2890052 00013103
	s_lshr_b32 s61, s82, 24                                    // 000000009C38: 8F3D9852
	s_and_b32 s82, s82, 0xffffff                               // 000000009C3C: 8652FF52 00FFFFFF
	s_mul_i32 s82, s82, s71                                    // 000000009C44: 92524752
	s_mul_i32 s61, s60, s61                                    // 000000009C48: 923D3D3C
	s_add_u32 s82, s82, s61                                    // 000000009C4C: 80523D52
	v_mul_lo_u32 v6, v5, s82                                   // 000000009C50: D2850006 0000A505
	v_readlane_b32 s82, v3, 25                                 // 000000009C58: D2890052 00013303
	s_lshr_b32 s61, s82, 24                                    // 000000009C60: 8F3D9852
	s_and_b32 s82, s82, 0xffffff                               // 000000009C64: 8652FF52 00FFFFFF
	s_mul_i32 s82, s82, s71                                    // 000000009C6C: 92524752
	s_mul_i32 s61, s60, s61                                    // 000000009C70: 923D3D3C
	s_add_u32 s82, s82, s61                                    // 000000009C74: 80523D52
	v_mul_lo_u32 v7, v4, s82                                   // 000000009C78: D2850007 0000A504
	v_add_u32_e32 v70, v6, v7                                  // 000000009C80: 688C0F06
	v_readlane_b32 s82, v3, 26                                 // 000000009C84: D2890052 00013503
	s_lshr_b32 s61, s82, 24                                    // 000000009C8C: 8F3D9852
	s_and_b32 s82, s82, 0xffffff                               // 000000009C90: 8652FF52 00FFFFFF
	s_mul_i32 s82, s82, s71                                    // 000000009C98: 92524752
	s_mul_i32 s61, s60, s61                                    // 000000009C9C: 923D3D3C
	s_add_u32 s82, s82, s61                                    // 000000009CA0: 80523D52
	v_mul_lo_u32 v6, v5, s82                                   // 000000009CA4: D2850006 0000A505
	v_readlane_b32 s82, v3, 27                                 // 000000009CAC: D2890052 00013703
	s_lshr_b32 s61, s82, 24                                    // 000000009CB4: 8F3D9852
	s_and_b32 s82, s82, 0xffffff                               // 000000009CB8: 8652FF52 00FFFFFF
	s_mul_i32 s82, s82, s71                                    // 000000009CC0: 92524752
	s_mul_i32 s61, s60, s61                                    // 000000009CC4: 923D3D3C
	s_add_u32 s82, s82, s61                                    // 000000009CC8: 80523D52
	v_mul_lo_u32 v7, v4, s82                                   // 000000009CCC: D2850007 0000A504
	v_add_u32_e32 v71, v6, v7                                  // 000000009CD4: 688E0F06
	v_and_b32_e32 v4, 31, v0                                   // 000000009CD8: 2608009F
	v_lshrrev_b32_e32 v4, 1, v4                                // 000000009CDC: 20080881
	s_cmp_eq_u32 s88, 0                                        // 000000009CE0: BF068058
	s_cselect_b32 s61, 2, 4                                    // 000000009CE4: 853D8482
	v_mul_lo_u32 v4, v4, s61                                   // 000000009CE8: D2850004 00007B04
	v_and_b32_e64 v5, v0, 1                                    // 000000009CF0: D1130005 00010300
	v_add_u32_e32 v4, v4, v5                                   // 000000009CF8: 68080B04
	v_lshlrev_b32_e32 v4, 2, v4                                // 000000009CFC: 24080882
	v_add_u32_e32 v58, v58, v4                                 // 000000009D00: 6874093A
	v_add_u32_e32 v59, v59, v4                                 // 000000009D04: 6876093B
	v_add_u32_e32 v60, v60, v4                                 // 000000009D08: 6878093C
	v_add_u32_e32 v61, v61, v4                                 // 000000009D0C: 687A093D
	v_add_u32_e32 v62, v62, v4                                 // 000000009D10: 687C093E
	v_add_u32_e32 v63, v63, v4                                 // 000000009D14: 687E093F
	v_add_u32_e32 v64, v64, v4                                 // 000000009D18: 68800940
	v_add_u32_e32 v65, v65, v4                                 // 000000009D1C: 68820941
	v_add_u32_e32 v66, v66, v4                                 // 000000009D20: 68840942
	v_add_u32_e32 v67, v67, v4                                 // 000000009D24: 68860943
	v_add_u32_e32 v68, v68, v4                                 // 000000009D28: 68880944
	v_add_u32_e32 v69, v69, v4                                 // 000000009D2C: 688A0945
	v_add_u32_e32 v70, v70, v4                                 // 000000009D30: 688C0946
	v_add_u32_e32 v71, v71, v4                                 // 000000009D34: 688E0947
	s_waitcnt lgkmcnt(0)                                       // 000000009D38: BF8CC07F
	s_barrier                                                  // 000000009D3C: BF8A0000
	ds_read_b32 v76, v21                                       // 000000009D40: D86C0000 4C000015
	ds_read_b32 v77, v21 offset:64                             // 000000009D48: D86C0040 4D000015
	ds_read_b32 v80, v21 offset:2176                           // 000000009D50: D86C0880 50000015
	ds_read_b32 v81, v21 offset:2240                           // 000000009D58: D86C08C0 51000015
	ds_read_b32 v84, v21 offset:4352                           // 000000009D60: D86C1100 54000015
	ds_read_b32 v85, v21 offset:4416                           // 000000009D68: D86C1140 55000015
	ds_read_b32 v88, v21 offset:6528                           // 000000009D70: D86C1980 58000015
	ds_read_b32 v89, v21 offset:6592                           // 000000009D78: D86C19C0 59000015
	ds_read_b32 v92, v21 offset:8704                           // 000000009D80: D86C2200 5C000015
	ds_read_b32 v93, v21 offset:8768                           // 000000009D88: D86C2240 5D000015
	ds_read_b32 v96, v21 offset:10880                          // 000000009D90: D86C2A80 60000015
	ds_read_b32 v97, v21 offset:10944                          // 000000009D98: D86C2AC0 61000015
	ds_read_b32 v100, v21 offset:13056                         // 000000009DA0: D86C3300 64000015
	ds_read_b32 v101, v21 offset:13120                         // 000000009DA8: D86C3340 65000015
	ds_read_b32 v104, v21 offset:15232                         // 000000009DB0: D86C3B80 68000015
	ds_read_b32 v105, v21 offset:15296                         // 000000009DB8: D86C3BC0 69000015
	ds_read_b32 v108, v21 offset:17408                         // 000000009DC0: D86C4400 6C000015
	ds_read_b32 v109, v21 offset:17472                         // 000000009DC8: D86C4440 6D000015
	ds_read_b32 v112, v21 offset:19584                         // 000000009DD0: D86C4C80 70000015
	ds_read_b32 v113, v21 offset:19648                         // 000000009DD8: D86C4CC0 71000015
	ds_read_b32 v116, v21 offset:21760                         // 000000009DE0: D86C5500 74000015
	ds_read_b32 v117, v21 offset:21824                         // 000000009DE8: D86C5540 75000015
	ds_read_b32 v120, v21 offset:23936                         // 000000009DF0: D86C5D80 78000015
	ds_read_b32 v121, v21 offset:24000                         // 000000009DF8: D86C5DC0 79000015
	ds_read_b32 v124, v21 offset:26112                         // 000000009E00: D86C6600 7C000015
	ds_read_b32 v125, v21 offset:26176                         // 000000009E08: D86C6640 7D000015
	ds_read_b32 v128, v21 offset:28288                         // 000000009E10: D86C6E80 80000015
	ds_read_b32 v129, v21 offset:28352                         // 000000009E18: D86C6EC0 81000015
	s_waitcnt lgkmcnt(0)                                       // 000000009E20: BF8CC07F
	s_mov_b32 s36, -1                                          // 000000009E24: BEA400C1
	s_mov_b32 s37, -1                                          // 000000009E28: BEA500C1
	v_mov_b32_e32 v7, 0                                        // 000000009E2C: 7E0E0280
	s_mov_b64 exec, s[36:37]                                   // 000000009E30: BEFE0124
	v_mov_b32_e32 v6, v58                                      // 000000009E34: 7E0C033A
	s_mov_b64 s[60:61], 0                                      // 000000009E38: BEBC0180
	v_readlane_b32 s82, v3, 0                                  // 000000009E3C: D2890052 00010103
	s_and_b32 s82, s82, 0xffffff                               // 000000009E44: 8652FF52 00FFFFFF
	s_cmp_lt_u32 s82, s66                                      // 000000009E4C: BF0A4252
	s_cselect_b32 s20, s36, s60                                // 000000009E50: 85143C24
	v_readlane_b32 s82, v3, 1                                  // 000000009E54: D2890052 00010303
	s_and_b32 s82, s82, 0xffffff                               // 000000009E5C: 8652FF52 00FFFFFF
	s_cmp_lt_u32 s82, s66                                      // 000000009E64: BF0A4252
	s_cselect_b32 s21, s36, s60                                // 000000009E68: 85153C24
	s_mov_b64 exec, s[20:21]                                   // 000000009E6C: BEFE0114
	global_atomic_add_f32 v6, v76, s[8:9]                      // 000000009E70: DD348000 00084C06
	global_atomic_add_f32 v6, v80, s[8:9] offset:256           // 000000009E78: DD348100 00085006
	s_mov_b64 exec, s[36:37]                                   // 000000009E80: BEFE0124
	v_mov_b32_e32 v6, v59                                      // 000000009E84: 7E0C033B
	s_mov_b64 s[60:61], 0                                      // 000000009E88: BEBC0180
	v_readlane_b32 s82, v3, 2                                  // 000000009E8C: D2890052 00010503
	s_and_b32 s82, s82, 0xffffff                               // 000000009E94: 8652FF52 00FFFFFF
	s_cmp_lt_u32 s82, s66                                      // 000000009E9C: BF0A4252
	s_cselect_b32 s20, s36, s60                                // 000000009EA0: 85143C24
	v_readlane_b32 s82, v3, 3                                  // 000000009EA4: D2890052 00010703
	s_and_b32 s82, s82, 0xffffff                               // 000000009EAC: 8652FF52 00FFFFFF
	s_cmp_lt_u32 s82, s66                                      // 000000009EB4: BF0A4252
	s_cselect_b32 s21, s36, s60                                // 000000009EB8: 85153C24
	s_mov_b64 exec, s[20:21]                                   // 000000009EBC: BEFE0114
	global_atomic_add_f32 v6, v77, s[8:9]                      // 000000009EC0: DD348000 00084D06
	global_atomic_add_f32 v6, v81, s[8:9] offset:256           // 000000009EC8: DD348100 00085106
	s_mov_b64 exec, s[36:37]                                   // 000000009ED0: BEFE0124
	v_mov_b32_e32 v6, v60                                      // 000000009ED4: 7E0C033C
	s_mov_b64 s[60:61], 0                                      // 000000009ED8: BEBC0180
	v_readlane_b32 s82, v3, 4                                  // 000000009EDC: D2890052 00010903
	s_and_b32 s82, s82, 0xffffff                               // 000000009EE4: 8652FF52 00FFFFFF
	s_cmp_lt_u32 s82, s66                                      // 000000009EEC: BF0A4252
	s_cselect_b32 s20, s36, s60                                // 000000009EF0: 85143C24
	v_readlane_b32 s82, v3, 5                                  // 000000009EF4: D2890052 00010B03
	s_and_b32 s82, s82, 0xffffff                               // 000000009EFC: 8652FF52 00FFFFFF
	s_cmp_lt_u32 s82, s66                                      // 000000009F04: BF0A4252
	s_cselect_b32 s21, s36, s60                                // 000000009F08: 85153C24
	s_mov_b64 exec, s[20:21]                                   // 000000009F0C: BEFE0114
	global_atomic_add_f32 v6, v84, s[8:9]                      // 000000009F10: DD348000 00085406
	global_atomic_add_f32 v6, v88, s[8:9] offset:256           // 000000009F18: DD348100 00085806
	s_mov_b64 exec, s[36:37]                                   // 000000009F20: BEFE0124
	v_mov_b32_e32 v6, v61                                      // 000000009F24: 7E0C033D
	s_mov_b64 s[60:61], 0                                      // 000000009F28: BEBC0180
	v_readlane_b32 s82, v3, 6                                  // 000000009F2C: D2890052 00010D03
	s_and_b32 s82, s82, 0xffffff                               // 000000009F34: 8652FF52 00FFFFFF
	s_cmp_lt_u32 s82, s66                                      // 000000009F3C: BF0A4252
	s_cselect_b32 s20, s36, s60                                // 000000009F40: 85143C24
	v_readlane_b32 s82, v3, 7                                  // 000000009F44: D2890052 00010F03
	s_and_b32 s82, s82, 0xffffff                               // 000000009F4C: 8652FF52 00FFFFFF
	s_cmp_lt_u32 s82, s66                                      // 000000009F54: BF0A4252
	s_cselect_b32 s21, s36, s60                                // 000000009F58: 85153C24
	s_mov_b64 exec, s[20:21]                                   // 000000009F5C: BEFE0114
	global_atomic_add_f32 v6, v85, s[8:9]                      // 000000009F60: DD348000 00085506
	global_atomic_add_f32 v6, v89, s[8:9] offset:256           // 000000009F68: DD348100 00085906
	s_mov_b64 exec, s[36:37]                                   // 000000009F70: BEFE0124
	v_mov_b32_e32 v6, v62                                      // 000000009F74: 7E0C033E
	s_mov_b64 s[60:61], 0                                      // 000000009F78: BEBC0180
	v_readlane_b32 s82, v3, 8                                  // 000000009F7C: D2890052 00011103
	s_and_b32 s82, s82, 0xffffff                               // 000000009F84: 8652FF52 00FFFFFF
	s_cmp_lt_u32 s82, s66                                      // 000000009F8C: BF0A4252
	s_cselect_b32 s20, s36, s60                                // 000000009F90: 85143C24
	v_readlane_b32 s82, v3, 9                                  // 000000009F94: D2890052 00011303
	s_and_b32 s82, s82, 0xffffff                               // 000000009F9C: 8652FF52 00FFFFFF
	s_cmp_lt_u32 s82, s66                                      // 000000009FA4: BF0A4252
	s_cselect_b32 s21, s36, s60                                // 000000009FA8: 85153C24
	s_mov_b64 exec, s[20:21]                                   // 000000009FAC: BEFE0114
	global_atomic_add_f32 v6, v92, s[8:9]                      // 000000009FB0: DD348000 00085C06
	global_atomic_add_f32 v6, v96, s[8:9] offset:256           // 000000009FB8: DD348100 00086006
	s_mov_b64 exec, s[36:37]                                   // 000000009FC0: BEFE0124
	v_mov_b32_e32 v6, v63                                      // 000000009FC4: 7E0C033F
	s_mov_b64 s[60:61], 0                                      // 000000009FC8: BEBC0180
	v_readlane_b32 s82, v3, 10                                 // 000000009FCC: D2890052 00011503
	s_and_b32 s82, s82, 0xffffff                               // 000000009FD4: 8652FF52 00FFFFFF
	s_cmp_lt_u32 s82, s66                                      // 000000009FDC: BF0A4252
	s_cselect_b32 s20, s36, s60                                // 000000009FE0: 85143C24
	v_readlane_b32 s82, v3, 11                                 // 000000009FE4: D2890052 00011703
	s_and_b32 s82, s82, 0xffffff                               // 000000009FEC: 8652FF52 00FFFFFF
	s_cmp_lt_u32 s82, s66                                      // 000000009FF4: BF0A4252
	s_cselect_b32 s21, s36, s60                                // 000000009FF8: 85153C24
	s_mov_b64 exec, s[20:21]                                   // 000000009FFC: BEFE0114
	global_atomic_add_f32 v6, v93, s[8:9]                      // 00000000A000: DD348000 00085D06
	global_atomic_add_f32 v6, v97, s[8:9] offset:256           // 00000000A008: DD348100 00086106
	s_mov_b64 exec, s[36:37]                                   // 00000000A010: BEFE0124
	v_mov_b32_e32 v6, v64                                      // 00000000A014: 7E0C0340
	s_mov_b64 s[60:61], 0                                      // 00000000A018: BEBC0180
	v_readlane_b32 s82, v3, 12                                 // 00000000A01C: D2890052 00011903
	s_and_b32 s82, s82, 0xffffff                               // 00000000A024: 8652FF52 00FFFFFF
	s_cmp_lt_u32 s82, s66                                      // 00000000A02C: BF0A4252
	s_cselect_b32 s20, s36, s60                                // 00000000A030: 85143C24
	v_readlane_b32 s82, v3, 13                                 // 00000000A034: D2890052 00011B03
	s_and_b32 s82, s82, 0xffffff                               // 00000000A03C: 8652FF52 00FFFFFF
	s_cmp_lt_u32 s82, s66                                      // 00000000A044: BF0A4252
	s_cselect_b32 s21, s36, s60                                // 00000000A048: 85153C24
	s_mov_b64 exec, s[20:21]                                   // 00000000A04C: BEFE0114
	global_atomic_add_f32 v6, v100, s[8:9]                     // 00000000A050: DD348000 00086406
	global_atomic_add_f32 v6, v104, s[8:9] offset:256          // 00000000A058: DD348100 00086806
	s_mov_b64 exec, s[36:37]                                   // 00000000A060: BEFE0124
	v_mov_b32_e32 v6, v65                                      // 00000000A064: 7E0C0341
	s_mov_b64 s[60:61], 0                                      // 00000000A068: BEBC0180
	v_readlane_b32 s82, v3, 14                                 // 00000000A06C: D2890052 00011D03
	s_and_b32 s82, s82, 0xffffff                               // 00000000A074: 8652FF52 00FFFFFF
	s_cmp_lt_u32 s82, s66                                      // 00000000A07C: BF0A4252
	s_cselect_b32 s20, s36, s60                                // 00000000A080: 85143C24
	v_readlane_b32 s82, v3, 15                                 // 00000000A084: D2890052 00011F03
	s_and_b32 s82, s82, 0xffffff                               // 00000000A08C: 8652FF52 00FFFFFF
	s_cmp_lt_u32 s82, s66                                      // 00000000A094: BF0A4252
	s_cselect_b32 s21, s36, s60                                // 00000000A098: 85153C24
	s_mov_b64 exec, s[20:21]                                   // 00000000A09C: BEFE0114
	global_atomic_add_f32 v6, v101, s[8:9]                     // 00000000A0A0: DD348000 00086506
	global_atomic_add_f32 v6, v105, s[8:9] offset:256          // 00000000A0A8: DD348100 00086906
	s_mov_b64 exec, s[36:37]                                   // 00000000A0B0: BEFE0124
	v_mov_b32_e32 v6, v66                                      // 00000000A0B4: 7E0C0342
	s_mov_b64 s[60:61], 0                                      // 00000000A0B8: BEBC0180
	v_readlane_b32 s82, v3, 16                                 // 00000000A0BC: D2890052 00012103
	s_and_b32 s82, s82, 0xffffff                               // 00000000A0C4: 8652FF52 00FFFFFF
	s_cmp_lt_u32 s82, s66                                      // 00000000A0CC: BF0A4252
	s_cselect_b32 s20, s36, s60                                // 00000000A0D0: 85143C24
	v_readlane_b32 s82, v3, 17                                 // 00000000A0D4: D2890052 00012303
	s_and_b32 s82, s82, 0xffffff                               // 00000000A0DC: 8652FF52 00FFFFFF
	s_cmp_lt_u32 s82, s66                                      // 00000000A0E4: BF0A4252
	s_cselect_b32 s21, s36, s60                                // 00000000A0E8: 85153C24
	s_mov_b64 exec, s[20:21]                                   // 00000000A0EC: BEFE0114
	global_atomic_add_f32 v6, v108, s[8:9]                     // 00000000A0F0: DD348000 00086C06
	global_atomic_add_f32 v6, v112, s[8:9] offset:256          // 00000000A0F8: DD348100 00087006
	s_mov_b64 exec, s[36:37]                                   // 00000000A100: BEFE0124
	v_mov_b32_e32 v6, v67                                      // 00000000A104: 7E0C0343
	s_mov_b64 s[60:61], 0                                      // 00000000A108: BEBC0180
	v_readlane_b32 s82, v3, 18                                 // 00000000A10C: D2890052 00012503
	s_and_b32 s82, s82, 0xffffff                               // 00000000A114: 8652FF52 00FFFFFF
	s_cmp_lt_u32 s82, s66                                      // 00000000A11C: BF0A4252
	s_cselect_b32 s20, s36, s60                                // 00000000A120: 85143C24
	v_readlane_b32 s82, v3, 19                                 // 00000000A124: D2890052 00012703
	s_and_b32 s82, s82, 0xffffff                               // 00000000A12C: 8652FF52 00FFFFFF
	s_cmp_lt_u32 s82, s66                                      // 00000000A134: BF0A4252
	s_cselect_b32 s21, s36, s60                                // 00000000A138: 85153C24
	s_mov_b64 exec, s[20:21]                                   // 00000000A13C: BEFE0114
	global_atomic_add_f32 v6, v109, s[8:9]                     // 00000000A140: DD348000 00086D06
	global_atomic_add_f32 v6, v113, s[8:9] offset:256          // 00000000A148: DD348100 00087106
	s_mov_b64 exec, s[36:37]                                   // 00000000A150: BEFE0124
	v_mov_b32_e32 v6, v68                                      // 00000000A154: 7E0C0344
	s_mov_b64 s[60:61], 0                                      // 00000000A158: BEBC0180
	v_readlane_b32 s82, v3, 20                                 // 00000000A15C: D2890052 00012903
	s_and_b32 s82, s82, 0xffffff                               // 00000000A164: 8652FF52 00FFFFFF
	s_cmp_lt_u32 s82, s66                                      // 00000000A16C: BF0A4252
	s_cselect_b32 s20, s36, s60                                // 00000000A170: 85143C24
	v_readlane_b32 s82, v3, 21                                 // 00000000A174: D2890052 00012B03
	s_and_b32 s82, s82, 0xffffff                               // 00000000A17C: 8652FF52 00FFFFFF
	s_cmp_lt_u32 s82, s66                                      // 00000000A184: BF0A4252
	s_cselect_b32 s21, s36, s60                                // 00000000A188: 85153C24
	s_mov_b64 exec, s[20:21]                                   // 00000000A18C: BEFE0114
	global_atomic_add_f32 v6, v116, s[8:9]                     // 00000000A190: DD348000 00087406
	global_atomic_add_f32 v6, v120, s[8:9] offset:256          // 00000000A198: DD348100 00087806
	s_mov_b64 exec, s[36:37]                                   // 00000000A1A0: BEFE0124
	v_mov_b32_e32 v6, v69                                      // 00000000A1A4: 7E0C0345
	s_mov_b64 s[60:61], 0                                      // 00000000A1A8: BEBC0180
	v_readlane_b32 s82, v3, 22                                 // 00000000A1AC: D2890052 00012D03
	s_and_b32 s82, s82, 0xffffff                               // 00000000A1B4: 8652FF52 00FFFFFF
	s_cmp_lt_u32 s82, s66                                      // 00000000A1BC: BF0A4252
	s_cselect_b32 s20, s36, s60                                // 00000000A1C0: 85143C24
	v_readlane_b32 s82, v3, 23                                 // 00000000A1C4: D2890052 00012F03
	s_and_b32 s82, s82, 0xffffff                               // 00000000A1CC: 8652FF52 00FFFFFF
	s_cmp_lt_u32 s82, s66                                      // 00000000A1D4: BF0A4252
	s_cselect_b32 s21, s36, s60                                // 00000000A1D8: 85153C24
	s_mov_b64 exec, s[20:21]                                   // 00000000A1DC: BEFE0114
	global_atomic_add_f32 v6, v117, s[8:9]                     // 00000000A1E0: DD348000 00087506
	global_atomic_add_f32 v6, v121, s[8:9] offset:256          // 00000000A1E8: DD348100 00087906
	s_mov_b64 exec, s[36:37]                                   // 00000000A1F0: BEFE0124
	v_mov_b32_e32 v6, v70                                      // 00000000A1F4: 7E0C0346
	s_mov_b64 s[60:61], 0                                      // 00000000A1F8: BEBC0180
	v_readlane_b32 s82, v3, 24                                 // 00000000A1FC: D2890052 00013103
	s_and_b32 s82, s82, 0xffffff                               // 00000000A204: 8652FF52 00FFFFFF
	s_cmp_lt_u32 s82, s66                                      // 00000000A20C: BF0A4252
	s_cselect_b32 s20, s36, s60                                // 00000000A210: 85143C24
	v_readlane_b32 s82, v3, 25                                 // 00000000A214: D2890052 00013303
	s_and_b32 s82, s82, 0xffffff                               // 00000000A21C: 8652FF52 00FFFFFF
	s_cmp_lt_u32 s82, s66                                      // 00000000A224: BF0A4252
	s_cselect_b32 s21, s36, s60                                // 00000000A228: 85153C24
	s_mov_b64 exec, s[20:21]                                   // 00000000A22C: BEFE0114
	global_atomic_add_f32 v6, v124, s[8:9]                     // 00000000A230: DD348000 00087C06
	global_atomic_add_f32 v6, v128, s[8:9] offset:256          // 00000000A238: DD348100 00088006
	s_mov_b64 exec, s[36:37]                                   // 00000000A240: BEFE0124
	v_mov_b32_e32 v6, v71                                      // 00000000A244: 7E0C0347
	s_mov_b64 s[60:61], 0                                      // 00000000A248: BEBC0180
	v_readlane_b32 s82, v3, 26                                 // 00000000A24C: D2890052 00013503
	s_and_b32 s82, s82, 0xffffff                               // 00000000A254: 8652FF52 00FFFFFF
	s_cmp_lt_u32 s82, s66                                      // 00000000A25C: BF0A4252
	s_cselect_b32 s20, s36, s60                                // 00000000A260: 85143C24
	v_readlane_b32 s82, v3, 27                                 // 00000000A264: D2890052 00013703
	s_and_b32 s82, s82, 0xffffff                               // 00000000A26C: 8652FF52 00FFFFFF
	s_cmp_lt_u32 s82, s66                                      // 00000000A274: BF0A4252
	s_cselect_b32 s21, s36, s60                                // 00000000A278: 85153C24
	s_mov_b64 exec, s[20:21]                                   // 00000000A27C: BEFE0114
	global_atomic_add_f32 v6, v125, s[8:9]                     // 00000000A280: DD348000 00087D06
	global_atomic_add_f32 v6, v129, s[8:9] offset:256          // 00000000A288: DD348100 00088106
	s_mov_b64 exec, s[36:37]                                   // 00000000A290: BEFE0124
	ds_write_b64 v20, v[78:79]                                 // 00000000A294: D89A0000 00004E14
	ds_write_b64 v20, v[82:83] offset:4352                     // 00000000A29C: D89A1100 00005214
	ds_write_b64 v20, v[86:87] offset:8704                     // 00000000A2A4: D89A2200 00005614
	ds_write_b64 v20, v[90:91] offset:13056                    // 00000000A2AC: D89A3300 00005A14
	ds_write_b64 v20, v[94:95] offset:17408                    // 00000000A2B4: D89A4400 00005E14
	ds_write_b64 v20, v[98:99] offset:21760                    // 00000000A2BC: D89A5500 00006214
	ds_write_b64 v20, v[102:103] offset:26112                  // 00000000A2C4: D89A6600 00006614
	ds_write_b64 v20, v[106:107] offset:2176                   // 00000000A2CC: D89A0880 00006A14
	ds_write_b64 v20, v[110:111] offset:6528                   // 00000000A2D4: D89A1980 00006E14
	ds_write_b64 v20, v[114:115] offset:10880                  // 00000000A2DC: D89A2A80 00007214
	ds_write_b64 v20, v[118:119] offset:15232                  // 00000000A2E4: D89A3B80 00007614
	ds_write_b64 v20, v[122:123] offset:19584                  // 00000000A2EC: D89A4C80 00007A14
	ds_write_b64 v20, v[126:127] offset:23936                  // 00000000A2F4: D89A5D80 00007E14
	ds_write_b64 v20, v[130:131] offset:28288                  // 00000000A2FC: D89A6E80 00008214
	s_waitcnt lgkmcnt(0)                                       // 00000000A304: BF8CC07F
	s_barrier                                                  // 00000000A308: BF8A0000
	ds_read_b32 v78, v21                                       // 00000000A30C: D86C0000 4E000015
	ds_read_b32 v79, v21 offset:64                             // 00000000A314: D86C0040 4F000015
	ds_read_b32 v82, v21 offset:2176                           // 00000000A31C: D86C0880 52000015
	ds_read_b32 v83, v21 offset:2240                           // 00000000A324: D86C08C0 53000015
	ds_read_b32 v86, v21 offset:4352                           // 00000000A32C: D86C1100 56000015
	ds_read_b32 v87, v21 offset:4416                           // 00000000A334: D86C1140 57000015
	ds_read_b32 v90, v21 offset:6528                           // 00000000A33C: D86C1980 5A000015
	ds_read_b32 v91, v21 offset:6592                           // 00000000A344: D86C19C0 5B000015
	ds_read_b32 v94, v21 offset:8704                           // 00000000A34C: D86C2200 5E000015
	ds_read_b32 v95, v21 offset:8768                           // 00000000A354: D86C2240 5F000015
	ds_read_b32 v98, v21 offset:10880                          // 00000000A35C: D86C2A80 62000015
	ds_read_b32 v99, v21 offset:10944                          // 00000000A364: D86C2AC0 63000015
	ds_read_b32 v102, v21 offset:13056                         // 00000000A36C: D86C3300 66000015
	ds_read_b32 v103, v21 offset:13120                         // 00000000A374: D86C3340 67000015
	ds_read_b32 v106, v21 offset:15232                         // 00000000A37C: D86C3B80 6A000015
	ds_read_b32 v107, v21 offset:15296                         // 00000000A384: D86C3BC0 6B000015
	ds_read_b32 v110, v21 offset:17408                         // 00000000A38C: D86C4400 6E000015
	ds_read_b32 v111, v21 offset:17472                         // 00000000A394: D86C4440 6F000015
	ds_read_b32 v114, v21 offset:19584                         // 00000000A39C: D86C4C80 72000015
	ds_read_b32 v115, v21 offset:19648                         // 00000000A3A4: D86C4CC0 73000015
	ds_read_b32 v118, v21 offset:21760                         // 00000000A3AC: D86C5500 76000015
	ds_read_b32 v119, v21 offset:21824                         // 00000000A3B4: D86C5540 77000015
	ds_read_b32 v122, v21 offset:23936                         // 00000000A3BC: D86C5D80 7A000015
	ds_read_b32 v123, v21 offset:24000                         // 00000000A3C4: D86C5DC0 7B000015
	ds_read_b32 v126, v21 offset:26112                         // 00000000A3CC: D86C6600 7E000015
	ds_read_b32 v127, v21 offset:26176                         // 00000000A3D4: D86C6640 7F000015
	ds_read_b32 v130, v21 offset:28288                         // 00000000A3DC: D86C6E80 82000015
	ds_read_b32 v131, v21 offset:28352                         // 00000000A3E4: D86C6EC0 83000015
	s_waitcnt lgkmcnt(0)                                       // 00000000A3EC: BF8CC07F
	v_mov_b32_e32 v7, 0                                        // 00000000A3F0: 7E0E0280
	s_mov_b64 exec, s[36:37]                                   // 00000000A3F4: BEFE0124
	v_mov_b32_e32 v6, v58                                      // 00000000A3F8: 7E0C033A
	s_mov_b64 s[60:61], 0                                      // 00000000A3FC: BEBC0180
	v_readlane_b32 s82, v3, 0                                  // 00000000A400: D2890052 00010103
	s_and_b32 s82, s82, 0xffffff                               // 00000000A408: 8652FF52 00FFFFFF
	s_cmp_lt_u32 s82, s66                                      // 00000000A410: BF0A4252
	s_cselect_b32 s20, s36, s60                                // 00000000A414: 85143C24
	v_readlane_b32 s82, v3, 1                                  // 00000000A418: D2890052 00010303
	s_and_b32 s82, s82, 0xffffff                               // 00000000A420: 8652FF52 00FFFFFF
	s_cmp_lt_u32 s82, s66                                      // 00000000A428: BF0A4252
	s_cselect_b32 s21, s36, s60                                // 00000000A42C: 85153C24
	s_mov_b64 exec, s[20:21]                                   // 00000000A430: BEFE0114
	global_atomic_add_f32 v6, v78, s[8:9] offset:8             // 00000000A434: DD348008 00084E06
	global_atomic_add_f32 v6, v82, s[8:9] offset:264           // 00000000A43C: DD348108 00085206
	s_mov_b64 exec, s[36:37]                                   // 00000000A444: BEFE0124
	v_mov_b32_e32 v6, v59                                      // 00000000A448: 7E0C033B
	s_mov_b64 s[60:61], 0                                      // 00000000A44C: BEBC0180
	v_readlane_b32 s82, v3, 2                                  // 00000000A450: D2890052 00010503
	s_and_b32 s82, s82, 0xffffff                               // 00000000A458: 8652FF52 00FFFFFF
	s_cmp_lt_u32 s82, s66                                      // 00000000A460: BF0A4252
	s_cselect_b32 s20, s36, s60                                // 00000000A464: 85143C24
	v_readlane_b32 s82, v3, 3                                  // 00000000A468: D2890052 00010703
	s_and_b32 s82, s82, 0xffffff                               // 00000000A470: 8652FF52 00FFFFFF
	s_cmp_lt_u32 s82, s66                                      // 00000000A478: BF0A4252
	s_cselect_b32 s21, s36, s60                                // 00000000A47C: 85153C24
	s_mov_b64 exec, s[20:21]                                   // 00000000A480: BEFE0114
	global_atomic_add_f32 v6, v79, s[8:9] offset:8             // 00000000A484: DD348008 00084F06
	global_atomic_add_f32 v6, v83, s[8:9] offset:264           // 00000000A48C: DD348108 00085306
	s_mov_b64 exec, s[36:37]                                   // 00000000A494: BEFE0124
	v_mov_b32_e32 v6, v60                                      // 00000000A498: 7E0C033C
	s_mov_b64 s[60:61], 0                                      // 00000000A49C: BEBC0180
	v_readlane_b32 s82, v3, 4                                  // 00000000A4A0: D2890052 00010903
	s_and_b32 s82, s82, 0xffffff                               // 00000000A4A8: 8652FF52 00FFFFFF
	s_cmp_lt_u32 s82, s66                                      // 00000000A4B0: BF0A4252
	s_cselect_b32 s20, s36, s60                                // 00000000A4B4: 85143C24
	v_readlane_b32 s82, v3, 5                                  // 00000000A4B8: D2890052 00010B03
	s_and_b32 s82, s82, 0xffffff                               // 00000000A4C0: 8652FF52 00FFFFFF
	s_cmp_lt_u32 s82, s66                                      // 00000000A4C8: BF0A4252
	s_cselect_b32 s21, s36, s60                                // 00000000A4CC: 85153C24
	s_mov_b64 exec, s[20:21]                                   // 00000000A4D0: BEFE0114
	global_atomic_add_f32 v6, v86, s[8:9] offset:8             // 00000000A4D4: DD348008 00085606
	global_atomic_add_f32 v6, v90, s[8:9] offset:264           // 00000000A4DC: DD348108 00085A06
	s_mov_b64 exec, s[36:37]                                   // 00000000A4E4: BEFE0124
	v_mov_b32_e32 v6, v61                                      // 00000000A4E8: 7E0C033D
	s_mov_b64 s[60:61], 0                                      // 00000000A4EC: BEBC0180
	v_readlane_b32 s82, v3, 6                                  // 00000000A4F0: D2890052 00010D03
	s_and_b32 s82, s82, 0xffffff                               // 00000000A4F8: 8652FF52 00FFFFFF
	s_cmp_lt_u32 s82, s66                                      // 00000000A500: BF0A4252
	s_cselect_b32 s20, s36, s60                                // 00000000A504: 85143C24
	v_readlane_b32 s82, v3, 7                                  // 00000000A508: D2890052 00010F03
	s_and_b32 s82, s82, 0xffffff                               // 00000000A510: 8652FF52 00FFFFFF
	s_cmp_lt_u32 s82, s66                                      // 00000000A518: BF0A4252
	s_cselect_b32 s21, s36, s60                                // 00000000A51C: 85153C24
	s_mov_b64 exec, s[20:21]                                   // 00000000A520: BEFE0114
	global_atomic_add_f32 v6, v87, s[8:9] offset:8             // 00000000A524: DD348008 00085706
	global_atomic_add_f32 v6, v91, s[8:9] offset:264           // 00000000A52C: DD348108 00085B06
	s_mov_b64 exec, s[36:37]                                   // 00000000A534: BEFE0124
	v_mov_b32_e32 v6, v62                                      // 00000000A538: 7E0C033E
	s_mov_b64 s[60:61], 0                                      // 00000000A53C: BEBC0180
	v_readlane_b32 s82, v3, 8                                  // 00000000A540: D2890052 00011103
	s_and_b32 s82, s82, 0xffffff                               // 00000000A548: 8652FF52 00FFFFFF
	s_cmp_lt_u32 s82, s66                                      // 00000000A550: BF0A4252
	s_cselect_b32 s20, s36, s60                                // 00000000A554: 85143C24
	v_readlane_b32 s82, v3, 9                                  // 00000000A558: D2890052 00011303
	s_and_b32 s82, s82, 0xffffff                               // 00000000A560: 8652FF52 00FFFFFF
	s_cmp_lt_u32 s82, s66                                      // 00000000A568: BF0A4252
	s_cselect_b32 s21, s36, s60                                // 00000000A56C: 85153C24
	s_mov_b64 exec, s[20:21]                                   // 00000000A570: BEFE0114
	global_atomic_add_f32 v6, v94, s[8:9] offset:8             // 00000000A574: DD348008 00085E06
	global_atomic_add_f32 v6, v98, s[8:9] offset:264           // 00000000A57C: DD348108 00086206
	s_mov_b64 exec, s[36:37]                                   // 00000000A584: BEFE0124
	v_mov_b32_e32 v6, v63                                      // 00000000A588: 7E0C033F
	s_mov_b64 s[60:61], 0                                      // 00000000A58C: BEBC0180
	v_readlane_b32 s82, v3, 10                                 // 00000000A590: D2890052 00011503
	s_and_b32 s82, s82, 0xffffff                               // 00000000A598: 8652FF52 00FFFFFF
	s_cmp_lt_u32 s82, s66                                      // 00000000A5A0: BF0A4252
	s_cselect_b32 s20, s36, s60                                // 00000000A5A4: 85143C24
	v_readlane_b32 s82, v3, 11                                 // 00000000A5A8: D2890052 00011703
	s_and_b32 s82, s82, 0xffffff                               // 00000000A5B0: 8652FF52 00FFFFFF
	s_cmp_lt_u32 s82, s66                                      // 00000000A5B8: BF0A4252
	s_cselect_b32 s21, s36, s60                                // 00000000A5BC: 85153C24
	s_mov_b64 exec, s[20:21]                                   // 00000000A5C0: BEFE0114
	global_atomic_add_f32 v6, v95, s[8:9] offset:8             // 00000000A5C4: DD348008 00085F06
	global_atomic_add_f32 v6, v99, s[8:9] offset:264           // 00000000A5CC: DD348108 00086306
	s_mov_b64 exec, s[36:37]                                   // 00000000A5D4: BEFE0124
	v_mov_b32_e32 v6, v64                                      // 00000000A5D8: 7E0C0340
	s_mov_b64 s[60:61], 0                                      // 00000000A5DC: BEBC0180
	v_readlane_b32 s82, v3, 12                                 // 00000000A5E0: D2890052 00011903
	s_and_b32 s82, s82, 0xffffff                               // 00000000A5E8: 8652FF52 00FFFFFF
	s_cmp_lt_u32 s82, s66                                      // 00000000A5F0: BF0A4252
	s_cselect_b32 s20, s36, s60                                // 00000000A5F4: 85143C24
	v_readlane_b32 s82, v3, 13                                 // 00000000A5F8: D2890052 00011B03
	s_and_b32 s82, s82, 0xffffff                               // 00000000A600: 8652FF52 00FFFFFF
	s_cmp_lt_u32 s82, s66                                      // 00000000A608: BF0A4252
	s_cselect_b32 s21, s36, s60                                // 00000000A60C: 85153C24
	s_mov_b64 exec, s[20:21]                                   // 00000000A610: BEFE0114
	global_atomic_add_f32 v6, v102, s[8:9] offset:8            // 00000000A614: DD348008 00086606
	global_atomic_add_f32 v6, v106, s[8:9] offset:264          // 00000000A61C: DD348108 00086A06
	s_mov_b64 exec, s[36:37]                                   // 00000000A624: BEFE0124
	v_mov_b32_e32 v6, v65                                      // 00000000A628: 7E0C0341
	s_mov_b64 s[60:61], 0                                      // 00000000A62C: BEBC0180
	v_readlane_b32 s82, v3, 14                                 // 00000000A630: D2890052 00011D03
	s_and_b32 s82, s82, 0xffffff                               // 00000000A638: 8652FF52 00FFFFFF
	s_cmp_lt_u32 s82, s66                                      // 00000000A640: BF0A4252
	s_cselect_b32 s20, s36, s60                                // 00000000A644: 85143C24
	v_readlane_b32 s82, v3, 15                                 // 00000000A648: D2890052 00011F03
	s_and_b32 s82, s82, 0xffffff                               // 00000000A650: 8652FF52 00FFFFFF
	s_cmp_lt_u32 s82, s66                                      // 00000000A658: BF0A4252
	s_cselect_b32 s21, s36, s60                                // 00000000A65C: 85153C24
	s_mov_b64 exec, s[20:21]                                   // 00000000A660: BEFE0114
	global_atomic_add_f32 v6, v103, s[8:9] offset:8            // 00000000A664: DD348008 00086706
	global_atomic_add_f32 v6, v107, s[8:9] offset:264          // 00000000A66C: DD348108 00086B06
	s_mov_b64 exec, s[36:37]                                   // 00000000A674: BEFE0124
	v_mov_b32_e32 v6, v66                                      // 00000000A678: 7E0C0342
	s_mov_b64 s[60:61], 0                                      // 00000000A67C: BEBC0180
	v_readlane_b32 s82, v3, 16                                 // 00000000A680: D2890052 00012103
	s_and_b32 s82, s82, 0xffffff                               // 00000000A688: 8652FF52 00FFFFFF
	s_cmp_lt_u32 s82, s66                                      // 00000000A690: BF0A4252
	s_cselect_b32 s20, s36, s60                                // 00000000A694: 85143C24
	v_readlane_b32 s82, v3, 17                                 // 00000000A698: D2890052 00012303
	s_and_b32 s82, s82, 0xffffff                               // 00000000A6A0: 8652FF52 00FFFFFF
	s_cmp_lt_u32 s82, s66                                      // 00000000A6A8: BF0A4252
	s_cselect_b32 s21, s36, s60                                // 00000000A6AC: 85153C24
	s_mov_b64 exec, s[20:21]                                   // 00000000A6B0: BEFE0114
	global_atomic_add_f32 v6, v110, s[8:9] offset:8            // 00000000A6B4: DD348008 00086E06
	global_atomic_add_f32 v6, v114, s[8:9] offset:264          // 00000000A6BC: DD348108 00087206
	s_mov_b64 exec, s[36:37]                                   // 00000000A6C4: BEFE0124
	v_mov_b32_e32 v6, v67                                      // 00000000A6C8: 7E0C0343
	s_mov_b64 s[60:61], 0                                      // 00000000A6CC: BEBC0180
	v_readlane_b32 s82, v3, 18                                 // 00000000A6D0: D2890052 00012503
	s_and_b32 s82, s82, 0xffffff                               // 00000000A6D8: 8652FF52 00FFFFFF
	s_cmp_lt_u32 s82, s66                                      // 00000000A6E0: BF0A4252
	s_cselect_b32 s20, s36, s60                                // 00000000A6E4: 85143C24
	v_readlane_b32 s82, v3, 19                                 // 00000000A6E8: D2890052 00012703
	s_and_b32 s82, s82, 0xffffff                               // 00000000A6F0: 8652FF52 00FFFFFF
	s_cmp_lt_u32 s82, s66                                      // 00000000A6F8: BF0A4252
	s_cselect_b32 s21, s36, s60                                // 00000000A6FC: 85153C24
	s_mov_b64 exec, s[20:21]                                   // 00000000A700: BEFE0114
	global_atomic_add_f32 v6, v111, s[8:9] offset:8            // 00000000A704: DD348008 00086F06
	global_atomic_add_f32 v6, v115, s[8:9] offset:264          // 00000000A70C: DD348108 00087306
	s_mov_b64 exec, s[36:37]                                   // 00000000A714: BEFE0124
	v_mov_b32_e32 v6, v68                                      // 00000000A718: 7E0C0344
	s_mov_b64 s[60:61], 0                                      // 00000000A71C: BEBC0180
	v_readlane_b32 s82, v3, 20                                 // 00000000A720: D2890052 00012903
	s_and_b32 s82, s82, 0xffffff                               // 00000000A728: 8652FF52 00FFFFFF
	s_cmp_lt_u32 s82, s66                                      // 00000000A730: BF0A4252
	s_cselect_b32 s20, s36, s60                                // 00000000A734: 85143C24
	v_readlane_b32 s82, v3, 21                                 // 00000000A738: D2890052 00012B03
	s_and_b32 s82, s82, 0xffffff                               // 00000000A740: 8652FF52 00FFFFFF
	s_cmp_lt_u32 s82, s66                                      // 00000000A748: BF0A4252
	s_cselect_b32 s21, s36, s60                                // 00000000A74C: 85153C24
	s_mov_b64 exec, s[20:21]                                   // 00000000A750: BEFE0114
	global_atomic_add_f32 v6, v118, s[8:9] offset:8            // 00000000A754: DD348008 00087606
	global_atomic_add_f32 v6, v122, s[8:9] offset:264          // 00000000A75C: DD348108 00087A06
	s_mov_b64 exec, s[36:37]                                   // 00000000A764: BEFE0124
	v_mov_b32_e32 v6, v69                                      // 00000000A768: 7E0C0345
	s_mov_b64 s[60:61], 0                                      // 00000000A76C: BEBC0180
	v_readlane_b32 s82, v3, 22                                 // 00000000A770: D2890052 00012D03
	s_and_b32 s82, s82, 0xffffff                               // 00000000A778: 8652FF52 00FFFFFF
	s_cmp_lt_u32 s82, s66                                      // 00000000A780: BF0A4252
	s_cselect_b32 s20, s36, s60                                // 00000000A784: 85143C24
	v_readlane_b32 s82, v3, 23                                 // 00000000A788: D2890052 00012F03
	s_and_b32 s82, s82, 0xffffff                               // 00000000A790: 8652FF52 00FFFFFF
	s_cmp_lt_u32 s82, s66                                      // 00000000A798: BF0A4252
	s_cselect_b32 s21, s36, s60                                // 00000000A79C: 85153C24
	s_mov_b64 exec, s[20:21]                                   // 00000000A7A0: BEFE0114
	global_atomic_add_f32 v6, v119, s[8:9] offset:8            // 00000000A7A4: DD348008 00087706
	global_atomic_add_f32 v6, v123, s[8:9] offset:264          // 00000000A7AC: DD348108 00087B06
	s_mov_b64 exec, s[36:37]                                   // 00000000A7B4: BEFE0124
	v_mov_b32_e32 v6, v70                                      // 00000000A7B8: 7E0C0346
	s_mov_b64 s[60:61], 0                                      // 00000000A7BC: BEBC0180
	v_readlane_b32 s82, v3, 24                                 // 00000000A7C0: D2890052 00013103
	s_and_b32 s82, s82, 0xffffff                               // 00000000A7C8: 8652FF52 00FFFFFF
	s_cmp_lt_u32 s82, s66                                      // 00000000A7D0: BF0A4252
	s_cselect_b32 s20, s36, s60                                // 00000000A7D4: 85143C24
	v_readlane_b32 s82, v3, 25                                 // 00000000A7D8: D2890052 00013303
	s_and_b32 s82, s82, 0xffffff                               // 00000000A7E0: 8652FF52 00FFFFFF
	s_cmp_lt_u32 s82, s66                                      // 00000000A7E8: BF0A4252
	s_cselect_b32 s21, s36, s60                                // 00000000A7EC: 85153C24
	s_mov_b64 exec, s[20:21]                                   // 00000000A7F0: BEFE0114
	global_atomic_add_f32 v6, v126, s[8:9] offset:8            // 00000000A7F4: DD348008 00087E06
	global_atomic_add_f32 v6, v130, s[8:9] offset:264          // 00000000A7FC: DD348108 00088206
	s_mov_b64 exec, s[36:37]                                   // 00000000A804: BEFE0124
	v_mov_b32_e32 v6, v71                                      // 00000000A808: 7E0C0347
	s_mov_b64 s[60:61], 0                                      // 00000000A80C: BEBC0180
	v_readlane_b32 s82, v3, 26                                 // 00000000A810: D2890052 00013503
	s_and_b32 s82, s82, 0xffffff                               // 00000000A818: 8652FF52 00FFFFFF
	s_cmp_lt_u32 s82, s66                                      // 00000000A820: BF0A4252
	s_cselect_b32 s20, s36, s60                                // 00000000A824: 85143C24
	v_readlane_b32 s82, v3, 27                                 // 00000000A828: D2890052 00013703
	s_and_b32 s82, s82, 0xffffff                               // 00000000A830: 8652FF52 00FFFFFF
	s_cmp_lt_u32 s82, s66                                      // 00000000A838: BF0A4252
	s_cselect_b32 s21, s36, s60                                // 00000000A83C: 85153C24
	s_mov_b64 exec, s[20:21]                                   // 00000000A840: BEFE0114
	global_atomic_add_f32 v6, v127, s[8:9] offset:8            // 00000000A844: DD348008 00087F06
	global_atomic_add_f32 v6, v131, s[8:9] offset:264          // 00000000A84C: DD348108 00088306
	s_mov_b64 exec, s[36:37]                                   // 00000000A854: BEFE0124
	ds_write_b64 v20, v[132:133]                               // 00000000A858: D89A0000 00008414
	ds_write_b64 v20, v[136:137] offset:4352                   // 00000000A860: D89A1100 00008814
	ds_write_b64 v20, v[140:141] offset:8704                   // 00000000A868: D89A2200 00008C14
	ds_write_b64 v20, v[144:145] offset:13056                  // 00000000A870: D89A3300 00009014
	ds_write_b64 v20, v[148:149] offset:17408                  // 00000000A878: D89A4400 00009414
	ds_write_b64 v20, v[152:153] offset:21760                  // 00000000A880: D89A5500 00009814
	ds_write_b64 v20, v[156:157] offset:26112                  // 00000000A888: D89A6600 00009C14
	ds_write_b64 v20, v[160:161] offset:2176                   // 00000000A890: D89A0880 0000A014
	ds_write_b64 v20, v[164:165] offset:6528                   // 00000000A898: D89A1980 0000A414
	ds_write_b64 v20, v[168:169] offset:10880                  // 00000000A8A0: D89A2A80 0000A814
	ds_write_b64 v20, v[172:173] offset:15232                  // 00000000A8A8: D89A3B80 0000AC14
	ds_write_b64 v20, v[176:177] offset:19584                  // 00000000A8B0: D89A4C80 0000B014
	ds_write_b64 v20, v[180:181] offset:23936                  // 00000000A8B8: D89A5D80 0000B414
	ds_write_b64 v20, v[184:185] offset:28288                  // 00000000A8C0: D89A6E80 0000B814
	s_waitcnt lgkmcnt(0)                                       // 00000000A8C8: BF8CC07F
	s_barrier                                                  // 00000000A8CC: BF8A0000
	ds_read_b32 v132, v21                                      // 00000000A8D0: D86C0000 84000015
	ds_read_b32 v133, v21 offset:64                            // 00000000A8D8: D86C0040 85000015
	ds_read_b32 v136, v21 offset:2176                          // 00000000A8E0: D86C0880 88000015
	ds_read_b32 v137, v21 offset:2240                          // 00000000A8E8: D86C08C0 89000015
	ds_read_b32 v140, v21 offset:4352                          // 00000000A8F0: D86C1100 8C000015
	ds_read_b32 v141, v21 offset:4416                          // 00000000A8F8: D86C1140 8D000015
	ds_read_b32 v144, v21 offset:6528                          // 00000000A900: D86C1980 90000015
	ds_read_b32 v145, v21 offset:6592                          // 00000000A908: D86C19C0 91000015
	ds_read_b32 v148, v21 offset:8704                          // 00000000A910: D86C2200 94000015
	ds_read_b32 v149, v21 offset:8768                          // 00000000A918: D86C2240 95000015
	ds_read_b32 v152, v21 offset:10880                         // 00000000A920: D86C2A80 98000015
	ds_read_b32 v153, v21 offset:10944                         // 00000000A928: D86C2AC0 99000015
	ds_read_b32 v156, v21 offset:13056                         // 00000000A930: D86C3300 9C000015
	ds_read_b32 v157, v21 offset:13120                         // 00000000A938: D86C3340 9D000015
	ds_read_b32 v160, v21 offset:15232                         // 00000000A940: D86C3B80 A0000015
	ds_read_b32 v161, v21 offset:15296                         // 00000000A948: D86C3BC0 A1000015
	ds_read_b32 v164, v21 offset:17408                         // 00000000A950: D86C4400 A4000015
	ds_read_b32 v165, v21 offset:17472                         // 00000000A958: D86C4440 A5000015
	ds_read_b32 v168, v21 offset:19584                         // 00000000A960: D86C4C80 A8000015
	ds_read_b32 v169, v21 offset:19648                         // 00000000A968: D86C4CC0 A9000015
	ds_read_b32 v172, v21 offset:21760                         // 00000000A970: D86C5500 AC000015
	ds_read_b32 v173, v21 offset:21824                         // 00000000A978: D86C5540 AD000015
	ds_read_b32 v176, v21 offset:23936                         // 00000000A980: D86C5D80 B0000015
	ds_read_b32 v177, v21 offset:24000                         // 00000000A988: D86C5DC0 B1000015
	ds_read_b32 v180, v21 offset:26112                         // 00000000A990: D86C6600 B4000015
	ds_read_b32 v181, v21 offset:26176                         // 00000000A998: D86C6640 B5000015
	ds_read_b32 v184, v21 offset:28288                         // 00000000A9A0: D86C6E80 B8000015
	ds_read_b32 v185, v21 offset:28352                         // 00000000A9A8: D86C6EC0 B9000015
	s_mul_i32 s60, s65, 4                                      // 00000000A9B0: 923C8441
	s_add_u32 s8, s60, s8                                      // 00000000A9B4: 8008083C
	s_addc_u32 s9, 0, s9                                       // 00000000A9B8: 82090980
	s_waitcnt lgkmcnt(0)                                       // 00000000A9BC: BF8CC07F
	v_mov_b32_e32 v7, 0                                        // 00000000A9C0: 7E0E0280
	s_mov_b64 exec, s[36:37]                                   // 00000000A9C4: BEFE0124
	v_mov_b32_e32 v6, v58                                      // 00000000A9C8: 7E0C033A
	s_mov_b64 s[60:61], 0                                      // 00000000A9CC: BEBC0180
	v_readlane_b32 s82, v3, 0                                  // 00000000A9D0: D2890052 00010103
	s_and_b32 s82, s82, 0xffffff                               // 00000000A9D8: 8652FF52 00FFFFFF
	s_cmp_lt_u32 s82, s66                                      // 00000000A9E0: BF0A4252
	s_cselect_b32 s20, s36, s60                                // 00000000A9E4: 85143C24
	v_readlane_b32 s82, v3, 1                                  // 00000000A9E8: D2890052 00010303
	s_and_b32 s82, s82, 0xffffff                               // 00000000A9F0: 8652FF52 00FFFFFF
	s_cmp_lt_u32 s82, s66                                      // 00000000A9F8: BF0A4252
	s_cselect_b32 s21, s36, s60                                // 00000000A9FC: 85153C24
	s_mov_b64 exec, s[20:21]                                   // 00000000AA00: BEFE0114
	global_atomic_add_f32 v6, v132, s[8:9]                     // 00000000AA04: DD348000 00088406
	global_atomic_add_f32 v6, v136, s[8:9] offset:256          // 00000000AA0C: DD348100 00088806
	s_mov_b64 exec, s[36:37]                                   // 00000000AA14: BEFE0124
	v_mov_b32_e32 v6, v59                                      // 00000000AA18: 7E0C033B
	s_mov_b64 s[60:61], 0                                      // 00000000AA1C: BEBC0180
	v_readlane_b32 s82, v3, 2                                  // 00000000AA20: D2890052 00010503
	s_and_b32 s82, s82, 0xffffff                               // 00000000AA28: 8652FF52 00FFFFFF
	s_cmp_lt_u32 s82, s66                                      // 00000000AA30: BF0A4252
	s_cselect_b32 s20, s36, s60                                // 00000000AA34: 85143C24
	v_readlane_b32 s82, v3, 3                                  // 00000000AA38: D2890052 00010703
	s_and_b32 s82, s82, 0xffffff                               // 00000000AA40: 8652FF52 00FFFFFF
	s_cmp_lt_u32 s82, s66                                      // 00000000AA48: BF0A4252
	s_cselect_b32 s21, s36, s60                                // 00000000AA4C: 85153C24
	s_mov_b64 exec, s[20:21]                                   // 00000000AA50: BEFE0114
	global_atomic_add_f32 v6, v133, s[8:9]                     // 00000000AA54: DD348000 00088506
	global_atomic_add_f32 v6, v137, s[8:9] offset:256          // 00000000AA5C: DD348100 00088906
	s_mov_b64 exec, s[36:37]                                   // 00000000AA64: BEFE0124
	v_mov_b32_e32 v6, v60                                      // 00000000AA68: 7E0C033C
	s_mov_b64 s[60:61], 0                                      // 00000000AA6C: BEBC0180
	v_readlane_b32 s82, v3, 4                                  // 00000000AA70: D2890052 00010903
	s_and_b32 s82, s82, 0xffffff                               // 00000000AA78: 8652FF52 00FFFFFF
	s_cmp_lt_u32 s82, s66                                      // 00000000AA80: BF0A4252
	s_cselect_b32 s20, s36, s60                                // 00000000AA84: 85143C24
	v_readlane_b32 s82, v3, 5                                  // 00000000AA88: D2890052 00010B03
	s_and_b32 s82, s82, 0xffffff                               // 00000000AA90: 8652FF52 00FFFFFF
	s_cmp_lt_u32 s82, s66                                      // 00000000AA98: BF0A4252
	s_cselect_b32 s21, s36, s60                                // 00000000AA9C: 85153C24
	s_mov_b64 exec, s[20:21]                                   // 00000000AAA0: BEFE0114
	global_atomic_add_f32 v6, v140, s[8:9]                     // 00000000AAA4: DD348000 00088C06
	global_atomic_add_f32 v6, v144, s[8:9] offset:256          // 00000000AAAC: DD348100 00089006
	s_mov_b64 exec, s[36:37]                                   // 00000000AAB4: BEFE0124
	v_mov_b32_e32 v6, v61                                      // 00000000AAB8: 7E0C033D
	s_mov_b64 s[60:61], 0                                      // 00000000AABC: BEBC0180
	v_readlane_b32 s82, v3, 6                                  // 00000000AAC0: D2890052 00010D03
	s_and_b32 s82, s82, 0xffffff                               // 00000000AAC8: 8652FF52 00FFFFFF
	s_cmp_lt_u32 s82, s66                                      // 00000000AAD0: BF0A4252
	s_cselect_b32 s20, s36, s60                                // 00000000AAD4: 85143C24
	v_readlane_b32 s82, v3, 7                                  // 00000000AAD8: D2890052 00010F03
	s_and_b32 s82, s82, 0xffffff                               // 00000000AAE0: 8652FF52 00FFFFFF
	s_cmp_lt_u32 s82, s66                                      // 00000000AAE8: BF0A4252
	s_cselect_b32 s21, s36, s60                                // 00000000AAEC: 85153C24
	s_mov_b64 exec, s[20:21]                                   // 00000000AAF0: BEFE0114
	global_atomic_add_f32 v6, v141, s[8:9]                     // 00000000AAF4: DD348000 00088D06
	global_atomic_add_f32 v6, v145, s[8:9] offset:256          // 00000000AAFC: DD348100 00089106
	s_mov_b64 exec, s[36:37]                                   // 00000000AB04: BEFE0124
	v_mov_b32_e32 v6, v62                                      // 00000000AB08: 7E0C033E
	s_mov_b64 s[60:61], 0                                      // 00000000AB0C: BEBC0180
	v_readlane_b32 s82, v3, 8                                  // 00000000AB10: D2890052 00011103
	s_and_b32 s82, s82, 0xffffff                               // 00000000AB18: 8652FF52 00FFFFFF
	s_cmp_lt_u32 s82, s66                                      // 00000000AB20: BF0A4252
	s_cselect_b32 s20, s36, s60                                // 00000000AB24: 85143C24
	v_readlane_b32 s82, v3, 9                                  // 00000000AB28: D2890052 00011303
	s_and_b32 s82, s82, 0xffffff                               // 00000000AB30: 8652FF52 00FFFFFF
	s_cmp_lt_u32 s82, s66                                      // 00000000AB38: BF0A4252
	s_cselect_b32 s21, s36, s60                                // 00000000AB3C: 85153C24
	s_mov_b64 exec, s[20:21]                                   // 00000000AB40: BEFE0114
	global_atomic_add_f32 v6, v148, s[8:9]                     // 00000000AB44: DD348000 00089406
	global_atomic_add_f32 v6, v152, s[8:9] offset:256          // 00000000AB4C: DD348100 00089806
	s_mov_b64 exec, s[36:37]                                   // 00000000AB54: BEFE0124
	v_mov_b32_e32 v6, v63                                      // 00000000AB58: 7E0C033F
	s_mov_b64 s[60:61], 0                                      // 00000000AB5C: BEBC0180
	v_readlane_b32 s82, v3, 10                                 // 00000000AB60: D2890052 00011503
	s_and_b32 s82, s82, 0xffffff                               // 00000000AB68: 8652FF52 00FFFFFF
	s_cmp_lt_u32 s82, s66                                      // 00000000AB70: BF0A4252
	s_cselect_b32 s20, s36, s60                                // 00000000AB74: 85143C24
	v_readlane_b32 s82, v3, 11                                 // 00000000AB78: D2890052 00011703
	s_and_b32 s82, s82, 0xffffff                               // 00000000AB80: 8652FF52 00FFFFFF
	s_cmp_lt_u32 s82, s66                                      // 00000000AB88: BF0A4252
	s_cselect_b32 s21, s36, s60                                // 00000000AB8C: 85153C24
	s_mov_b64 exec, s[20:21]                                   // 00000000AB90: BEFE0114
	global_atomic_add_f32 v6, v149, s[8:9]                     // 00000000AB94: DD348000 00089506
	global_atomic_add_f32 v6, v153, s[8:9] offset:256          // 00000000AB9C: DD348100 00089906
	s_mov_b64 exec, s[36:37]                                   // 00000000ABA4: BEFE0124
	v_mov_b32_e32 v6, v64                                      // 00000000ABA8: 7E0C0340
	s_mov_b64 s[60:61], 0                                      // 00000000ABAC: BEBC0180
	v_readlane_b32 s82, v3, 12                                 // 00000000ABB0: D2890052 00011903
	s_and_b32 s82, s82, 0xffffff                               // 00000000ABB8: 8652FF52 00FFFFFF
	s_cmp_lt_u32 s82, s66                                      // 00000000ABC0: BF0A4252
	s_cselect_b32 s20, s36, s60                                // 00000000ABC4: 85143C24
	v_readlane_b32 s82, v3, 13                                 // 00000000ABC8: D2890052 00011B03
	s_and_b32 s82, s82, 0xffffff                               // 00000000ABD0: 8652FF52 00FFFFFF
	s_cmp_lt_u32 s82, s66                                      // 00000000ABD8: BF0A4252
	s_cselect_b32 s21, s36, s60                                // 00000000ABDC: 85153C24
	s_mov_b64 exec, s[20:21]                                   // 00000000ABE0: BEFE0114
	global_atomic_add_f32 v6, v156, s[8:9]                     // 00000000ABE4: DD348000 00089C06
	global_atomic_add_f32 v6, v160, s[8:9] offset:256          // 00000000ABEC: DD348100 0008A006
	s_mov_b64 exec, s[36:37]                                   // 00000000ABF4: BEFE0124
	v_mov_b32_e32 v6, v65                                      // 00000000ABF8: 7E0C0341
	s_mov_b64 s[60:61], 0                                      // 00000000ABFC: BEBC0180
	v_readlane_b32 s82, v3, 14                                 // 00000000AC00: D2890052 00011D03
	s_and_b32 s82, s82, 0xffffff                               // 00000000AC08: 8652FF52 00FFFFFF
	s_cmp_lt_u32 s82, s66                                      // 00000000AC10: BF0A4252
	s_cselect_b32 s20, s36, s60                                // 00000000AC14: 85143C24
	v_readlane_b32 s82, v3, 15                                 // 00000000AC18: D2890052 00011F03
	s_and_b32 s82, s82, 0xffffff                               // 00000000AC20: 8652FF52 00FFFFFF
	s_cmp_lt_u32 s82, s66                                      // 00000000AC28: BF0A4252
	s_cselect_b32 s21, s36, s60                                // 00000000AC2C: 85153C24
	s_mov_b64 exec, s[20:21]                                   // 00000000AC30: BEFE0114
	global_atomic_add_f32 v6, v157, s[8:9]                     // 00000000AC34: DD348000 00089D06
	global_atomic_add_f32 v6, v161, s[8:9] offset:256          // 00000000AC3C: DD348100 0008A106
	s_mov_b64 exec, s[36:37]                                   // 00000000AC44: BEFE0124
	v_mov_b32_e32 v6, v66                                      // 00000000AC48: 7E0C0342
	s_mov_b64 s[60:61], 0                                      // 00000000AC4C: BEBC0180
	v_readlane_b32 s82, v3, 16                                 // 00000000AC50: D2890052 00012103
	s_and_b32 s82, s82, 0xffffff                               // 00000000AC58: 8652FF52 00FFFFFF
	s_cmp_lt_u32 s82, s66                                      // 00000000AC60: BF0A4252
	s_cselect_b32 s20, s36, s60                                // 00000000AC64: 85143C24
	v_readlane_b32 s82, v3, 17                                 // 00000000AC68: D2890052 00012303
	s_and_b32 s82, s82, 0xffffff                               // 00000000AC70: 8652FF52 00FFFFFF
	s_cmp_lt_u32 s82, s66                                      // 00000000AC78: BF0A4252
	s_cselect_b32 s21, s36, s60                                // 00000000AC7C: 85153C24
	s_mov_b64 exec, s[20:21]                                   // 00000000AC80: BEFE0114
	global_atomic_add_f32 v6, v164, s[8:9]                     // 00000000AC84: DD348000 0008A406
	global_atomic_add_f32 v6, v168, s[8:9] offset:256          // 00000000AC8C: DD348100 0008A806
	s_mov_b64 exec, s[36:37]                                   // 00000000AC94: BEFE0124
	v_mov_b32_e32 v6, v67                                      // 00000000AC98: 7E0C0343
	s_mov_b64 s[60:61], 0                                      // 00000000AC9C: BEBC0180
	v_readlane_b32 s82, v3, 18                                 // 00000000ACA0: D2890052 00012503
	s_and_b32 s82, s82, 0xffffff                               // 00000000ACA8: 8652FF52 00FFFFFF
	s_cmp_lt_u32 s82, s66                                      // 00000000ACB0: BF0A4252
	s_cselect_b32 s20, s36, s60                                // 00000000ACB4: 85143C24
	v_readlane_b32 s82, v3, 19                                 // 00000000ACB8: D2890052 00012703
	s_and_b32 s82, s82, 0xffffff                               // 00000000ACC0: 8652FF52 00FFFFFF
	s_cmp_lt_u32 s82, s66                                      // 00000000ACC8: BF0A4252
	s_cselect_b32 s21, s36, s60                                // 00000000ACCC: 85153C24
	s_mov_b64 exec, s[20:21]                                   // 00000000ACD0: BEFE0114
	global_atomic_add_f32 v6, v165, s[8:9]                     // 00000000ACD4: DD348000 0008A506
	global_atomic_add_f32 v6, v169, s[8:9] offset:256          // 00000000ACDC: DD348100 0008A906
	s_mov_b64 exec, s[36:37]                                   // 00000000ACE4: BEFE0124
	v_mov_b32_e32 v6, v68                                      // 00000000ACE8: 7E0C0344
	s_mov_b64 s[60:61], 0                                      // 00000000ACEC: BEBC0180
	v_readlane_b32 s82, v3, 20                                 // 00000000ACF0: D2890052 00012903
	s_and_b32 s82, s82, 0xffffff                               // 00000000ACF8: 8652FF52 00FFFFFF
	s_cmp_lt_u32 s82, s66                                      // 00000000AD00: BF0A4252
	s_cselect_b32 s20, s36, s60                                // 00000000AD04: 85143C24
	v_readlane_b32 s82, v3, 21                                 // 00000000AD08: D2890052 00012B03
	s_and_b32 s82, s82, 0xffffff                               // 00000000AD10: 8652FF52 00FFFFFF
	s_cmp_lt_u32 s82, s66                                      // 00000000AD18: BF0A4252
	s_cselect_b32 s21, s36, s60                                // 00000000AD1C: 85153C24
	s_mov_b64 exec, s[20:21]                                   // 00000000AD20: BEFE0114
	global_atomic_add_f32 v6, v172, s[8:9]                     // 00000000AD24: DD348000 0008AC06
	global_atomic_add_f32 v6, v176, s[8:9] offset:256          // 00000000AD2C: DD348100 0008B006
	s_mov_b64 exec, s[36:37]                                   // 00000000AD34: BEFE0124
	v_mov_b32_e32 v6, v69                                      // 00000000AD38: 7E0C0345
	s_mov_b64 s[60:61], 0                                      // 00000000AD3C: BEBC0180
	v_readlane_b32 s82, v3, 22                                 // 00000000AD40: D2890052 00012D03
	s_and_b32 s82, s82, 0xffffff                               // 00000000AD48: 8652FF52 00FFFFFF
	s_cmp_lt_u32 s82, s66                                      // 00000000AD50: BF0A4252
	s_cselect_b32 s20, s36, s60                                // 00000000AD54: 85143C24
	v_readlane_b32 s82, v3, 23                                 // 00000000AD58: D2890052 00012F03
	s_and_b32 s82, s82, 0xffffff                               // 00000000AD60: 8652FF52 00FFFFFF
	s_cmp_lt_u32 s82, s66                                      // 00000000AD68: BF0A4252
	s_cselect_b32 s21, s36, s60                                // 00000000AD6C: 85153C24
	s_mov_b64 exec, s[20:21]                                   // 00000000AD70: BEFE0114
	global_atomic_add_f32 v6, v173, s[8:9]                     // 00000000AD74: DD348000 0008AD06
	global_atomic_add_f32 v6, v177, s[8:9] offset:256          // 00000000AD7C: DD348100 0008B106
	s_mov_b64 exec, s[36:37]                                   // 00000000AD84: BEFE0124
	v_mov_b32_e32 v6, v70                                      // 00000000AD88: 7E0C0346
	s_mov_b64 s[60:61], 0                                      // 00000000AD8C: BEBC0180
	v_readlane_b32 s82, v3, 24                                 // 00000000AD90: D2890052 00013103
	s_and_b32 s82, s82, 0xffffff                               // 00000000AD98: 8652FF52 00FFFFFF
	s_cmp_lt_u32 s82, s66                                      // 00000000ADA0: BF0A4252
	s_cselect_b32 s20, s36, s60                                // 00000000ADA4: 85143C24
	v_readlane_b32 s82, v3, 25                                 // 00000000ADA8: D2890052 00013303
	s_and_b32 s82, s82, 0xffffff                               // 00000000ADB0: 8652FF52 00FFFFFF
	s_cmp_lt_u32 s82, s66                                      // 00000000ADB8: BF0A4252
	s_cselect_b32 s21, s36, s60                                // 00000000ADBC: 85153C24
	s_mov_b64 exec, s[20:21]                                   // 00000000ADC0: BEFE0114
	global_atomic_add_f32 v6, v180, s[8:9]                     // 00000000ADC4: DD348000 0008B406
	global_atomic_add_f32 v6, v184, s[8:9] offset:256          // 00000000ADCC: DD348100 0008B806
	s_mov_b64 exec, s[36:37]                                   // 00000000ADD4: BEFE0124
	v_mov_b32_e32 v6, v71                                      // 00000000ADD8: 7E0C0347
	s_mov_b64 s[60:61], 0                                      // 00000000ADDC: BEBC0180
	v_readlane_b32 s82, v3, 26                                 // 00000000ADE0: D2890052 00013503
	s_and_b32 s82, s82, 0xffffff                               // 00000000ADE8: 8652FF52 00FFFFFF
	s_cmp_lt_u32 s82, s66                                      // 00000000ADF0: BF0A4252
	s_cselect_b32 s20, s36, s60                                // 00000000ADF4: 85143C24
	v_readlane_b32 s82, v3, 27                                 // 00000000ADF8: D2890052 00013703
	s_and_b32 s82, s82, 0xffffff                               // 00000000AE00: 8652FF52 00FFFFFF
	s_cmp_lt_u32 s82, s66                                      // 00000000AE08: BF0A4252
	s_cselect_b32 s21, s36, s60                                // 00000000AE0C: 85153C24
	s_mov_b64 exec, s[20:21]                                   // 00000000AE10: BEFE0114
	global_atomic_add_f32 v6, v181, s[8:9]                     // 00000000AE14: DD348000 0008B506
	global_atomic_add_f32 v6, v185, s[8:9] offset:256          // 00000000AE1C: DD348100 0008B906
	s_mov_b64 exec, s[36:37]                                   // 00000000AE24: BEFE0124
	ds_write_b64 v20, v[134:135]                               // 00000000AE28: D89A0000 00008614
	ds_write_b64 v20, v[138:139] offset:4352                   // 00000000AE30: D89A1100 00008A14
	ds_write_b64 v20, v[142:143] offset:8704                   // 00000000AE38: D89A2200 00008E14
	ds_write_b64 v20, v[146:147] offset:13056                  // 00000000AE40: D89A3300 00009214
	ds_write_b64 v20, v[150:151] offset:17408                  // 00000000AE48: D89A4400 00009614
	ds_write_b64 v20, v[154:155] offset:21760                  // 00000000AE50: D89A5500 00009A14
	ds_write_b64 v20, v[158:159] offset:26112                  // 00000000AE58: D89A6600 00009E14
	ds_write_b64 v20, v[162:163] offset:2176                   // 00000000AE60: D89A0880 0000A214
	ds_write_b64 v20, v[166:167] offset:6528                   // 00000000AE68: D89A1980 0000A614
	ds_write_b64 v20, v[170:171] offset:10880                  // 00000000AE70: D89A2A80 0000AA14
	ds_write_b64 v20, v[174:175] offset:15232                  // 00000000AE78: D89A3B80 0000AE14
	ds_write_b64 v20, v[178:179] offset:19584                  // 00000000AE80: D89A4C80 0000B214
	ds_write_b64 v20, v[182:183] offset:23936                  // 00000000AE88: D89A5D80 0000B614
	ds_write_b64 v20, v[186:187] offset:28288                  // 00000000AE90: D89A6E80 0000BA14
	s_waitcnt lgkmcnt(0)                                       // 00000000AE98: BF8CC07F
	s_barrier                                                  // 00000000AE9C: BF8A0000
	ds_read_b32 v134, v21                                      // 00000000AEA0: D86C0000 86000015
	ds_read_b32 v135, v21 offset:64                            // 00000000AEA8: D86C0040 87000015
	ds_read_b32 v138, v21 offset:2176                          // 00000000AEB0: D86C0880 8A000015
	ds_read_b32 v139, v21 offset:2240                          // 00000000AEB8: D86C08C0 8B000015
	ds_read_b32 v142, v21 offset:4352                          // 00000000AEC0: D86C1100 8E000015
	ds_read_b32 v143, v21 offset:4416                          // 00000000AEC8: D86C1140 8F000015
	ds_read_b32 v146, v21 offset:6528                          // 00000000AED0: D86C1980 92000015
	ds_read_b32 v147, v21 offset:6592                          // 00000000AED8: D86C19C0 93000015
	ds_read_b32 v150, v21 offset:8704                          // 00000000AEE0: D86C2200 96000015
	ds_read_b32 v151, v21 offset:8768                          // 00000000AEE8: D86C2240 97000015
	ds_read_b32 v154, v21 offset:10880                         // 00000000AEF0: D86C2A80 9A000015
	ds_read_b32 v155, v21 offset:10944                         // 00000000AEF8: D86C2AC0 9B000015
	ds_read_b32 v158, v21 offset:13056                         // 00000000AF00: D86C3300 9E000015
	ds_read_b32 v159, v21 offset:13120                         // 00000000AF08: D86C3340 9F000015
	ds_read_b32 v162, v21 offset:15232                         // 00000000AF10: D86C3B80 A2000015
	ds_read_b32 v163, v21 offset:15296                         // 00000000AF18: D86C3BC0 A3000015
	ds_read_b32 v166, v21 offset:17408                         // 00000000AF20: D86C4400 A6000015
	ds_read_b32 v167, v21 offset:17472                         // 00000000AF28: D86C4440 A7000015
	ds_read_b32 v170, v21 offset:19584                         // 00000000AF30: D86C4C80 AA000015
	ds_read_b32 v171, v21 offset:19648                         // 00000000AF38: D86C4CC0 AB000015
	ds_read_b32 v174, v21 offset:21760                         // 00000000AF40: D86C5500 AE000015
	ds_read_b32 v175, v21 offset:21824                         // 00000000AF48: D86C5540 AF000015
	ds_read_b32 v178, v21 offset:23936                         // 00000000AF50: D86C5D80 B2000015
	ds_read_b32 v179, v21 offset:24000                         // 00000000AF58: D86C5DC0 B3000015
	ds_read_b32 v182, v21 offset:26112                         // 00000000AF60: D86C6600 B6000015
	ds_read_b32 v183, v21 offset:26176                         // 00000000AF68: D86C6640 B7000015
	ds_read_b32 v186, v21 offset:28288                         // 00000000AF70: D86C6E80 BA000015
	ds_read_b32 v187, v21 offset:28352                         // 00000000AF78: D86C6EC0 BB000015
	s_waitcnt lgkmcnt(0)                                       // 00000000AF80: BF8CC07F
	v_mov_b32_e32 v7, 0                                        // 00000000AF84: 7E0E0280
	s_mov_b64 exec, s[36:37]                                   // 00000000AF88: BEFE0124
	v_mov_b32_e32 v6, v58                                      // 00000000AF8C: 7E0C033A
	s_mov_b64 s[60:61], 0                                      // 00000000AF90: BEBC0180
	v_readlane_b32 s82, v3, 0                                  // 00000000AF94: D2890052 00010103
	s_and_b32 s82, s82, 0xffffff                               // 00000000AF9C: 8652FF52 00FFFFFF
	s_cmp_lt_u32 s82, s66                                      // 00000000AFA4: BF0A4252
	s_cselect_b32 s20, s36, s60                                // 00000000AFA8: 85143C24
	v_readlane_b32 s82, v3, 1                                  // 00000000AFAC: D2890052 00010303
	s_and_b32 s82, s82, 0xffffff                               // 00000000AFB4: 8652FF52 00FFFFFF
	s_cmp_lt_u32 s82, s66                                      // 00000000AFBC: BF0A4252
	s_cselect_b32 s21, s36, s60                                // 00000000AFC0: 85153C24
	s_mov_b64 exec, s[20:21]                                   // 00000000AFC4: BEFE0114
	global_atomic_add_f32 v6, v134, s[8:9] offset:8            // 00000000AFC8: DD348008 00088606
	global_atomic_add_f32 v6, v138, s[8:9] offset:264          // 00000000AFD0: DD348108 00088A06
	s_mov_b64 exec, s[36:37]                                   // 00000000AFD8: BEFE0124
	v_mov_b32_e32 v6, v59                                      // 00000000AFDC: 7E0C033B
	s_mov_b64 s[60:61], 0                                      // 00000000AFE0: BEBC0180
	v_readlane_b32 s82, v3, 2                                  // 00000000AFE4: D2890052 00010503
	s_and_b32 s82, s82, 0xffffff                               // 00000000AFEC: 8652FF52 00FFFFFF
	s_cmp_lt_u32 s82, s66                                      // 00000000AFF4: BF0A4252
	s_cselect_b32 s20, s36, s60                                // 00000000AFF8: 85143C24
	v_readlane_b32 s82, v3, 3                                  // 00000000AFFC: D2890052 00010703
	s_and_b32 s82, s82, 0xffffff                               // 00000000B004: 8652FF52 00FFFFFF
	s_cmp_lt_u32 s82, s66                                      // 00000000B00C: BF0A4252
	s_cselect_b32 s21, s36, s60                                // 00000000B010: 85153C24
	s_mov_b64 exec, s[20:21]                                   // 00000000B014: BEFE0114
	global_atomic_add_f32 v6, v135, s[8:9] offset:8            // 00000000B018: DD348008 00088706
	global_atomic_add_f32 v6, v139, s[8:9] offset:264          // 00000000B020: DD348108 00088B06
	s_mov_b64 exec, s[36:37]                                   // 00000000B028: BEFE0124
	v_mov_b32_e32 v6, v60                                      // 00000000B02C: 7E0C033C
	s_mov_b64 s[60:61], 0                                      // 00000000B030: BEBC0180
	v_readlane_b32 s82, v3, 4                                  // 00000000B034: D2890052 00010903
	s_and_b32 s82, s82, 0xffffff                               // 00000000B03C: 8652FF52 00FFFFFF
	s_cmp_lt_u32 s82, s66                                      // 00000000B044: BF0A4252
	s_cselect_b32 s20, s36, s60                                // 00000000B048: 85143C24
	v_readlane_b32 s82, v3, 5                                  // 00000000B04C: D2890052 00010B03
	s_and_b32 s82, s82, 0xffffff                               // 00000000B054: 8652FF52 00FFFFFF
	s_cmp_lt_u32 s82, s66                                      // 00000000B05C: BF0A4252
	s_cselect_b32 s21, s36, s60                                // 00000000B060: 85153C24
	s_mov_b64 exec, s[20:21]                                   // 00000000B064: BEFE0114
	global_atomic_add_f32 v6, v142, s[8:9] offset:8            // 00000000B068: DD348008 00088E06
	global_atomic_add_f32 v6, v146, s[8:9] offset:264          // 00000000B070: DD348108 00089206
	s_mov_b64 exec, s[36:37]                                   // 00000000B078: BEFE0124
	v_mov_b32_e32 v6, v61                                      // 00000000B07C: 7E0C033D
	s_mov_b64 s[60:61], 0                                      // 00000000B080: BEBC0180
	v_readlane_b32 s82, v3, 6                                  // 00000000B084: D2890052 00010D03
	s_and_b32 s82, s82, 0xffffff                               // 00000000B08C: 8652FF52 00FFFFFF
	s_cmp_lt_u32 s82, s66                                      // 00000000B094: BF0A4252
	s_cselect_b32 s20, s36, s60                                // 00000000B098: 85143C24
	v_readlane_b32 s82, v3, 7                                  // 00000000B09C: D2890052 00010F03
	s_and_b32 s82, s82, 0xffffff                               // 00000000B0A4: 8652FF52 00FFFFFF
	s_cmp_lt_u32 s82, s66                                      // 00000000B0AC: BF0A4252
	s_cselect_b32 s21, s36, s60                                // 00000000B0B0: 85153C24
	s_mov_b64 exec, s[20:21]                                   // 00000000B0B4: BEFE0114
	global_atomic_add_f32 v6, v143, s[8:9] offset:8            // 00000000B0B8: DD348008 00088F06
	global_atomic_add_f32 v6, v147, s[8:9] offset:264          // 00000000B0C0: DD348108 00089306
	s_mov_b64 exec, s[36:37]                                   // 00000000B0C8: BEFE0124
	v_mov_b32_e32 v6, v62                                      // 00000000B0CC: 7E0C033E
	s_mov_b64 s[60:61], 0                                      // 00000000B0D0: BEBC0180
	v_readlane_b32 s82, v3, 8                                  // 00000000B0D4: D2890052 00011103
	s_and_b32 s82, s82, 0xffffff                               // 00000000B0DC: 8652FF52 00FFFFFF
	s_cmp_lt_u32 s82, s66                                      // 00000000B0E4: BF0A4252
	s_cselect_b32 s20, s36, s60                                // 00000000B0E8: 85143C24
	v_readlane_b32 s82, v3, 9                                  // 00000000B0EC: D2890052 00011303
	s_and_b32 s82, s82, 0xffffff                               // 00000000B0F4: 8652FF52 00FFFFFF
	s_cmp_lt_u32 s82, s66                                      // 00000000B0FC: BF0A4252
	s_cselect_b32 s21, s36, s60                                // 00000000B100: 85153C24
	s_mov_b64 exec, s[20:21]                                   // 00000000B104: BEFE0114
	global_atomic_add_f32 v6, v150, s[8:9] offset:8            // 00000000B108: DD348008 00089606
	global_atomic_add_f32 v6, v154, s[8:9] offset:264          // 00000000B110: DD348108 00089A06
	s_mov_b64 exec, s[36:37]                                   // 00000000B118: BEFE0124
	v_mov_b32_e32 v6, v63                                      // 00000000B11C: 7E0C033F
	s_mov_b64 s[60:61], 0                                      // 00000000B120: BEBC0180
	v_readlane_b32 s82, v3, 10                                 // 00000000B124: D2890052 00011503
	s_and_b32 s82, s82, 0xffffff                               // 00000000B12C: 8652FF52 00FFFFFF
	s_cmp_lt_u32 s82, s66                                      // 00000000B134: BF0A4252
	s_cselect_b32 s20, s36, s60                                // 00000000B138: 85143C24
	v_readlane_b32 s82, v3, 11                                 // 00000000B13C: D2890052 00011703
	s_and_b32 s82, s82, 0xffffff                               // 00000000B144: 8652FF52 00FFFFFF
	s_cmp_lt_u32 s82, s66                                      // 00000000B14C: BF0A4252
	s_cselect_b32 s21, s36, s60                                // 00000000B150: 85153C24
	s_mov_b64 exec, s[20:21]                                   // 00000000B154: BEFE0114
	global_atomic_add_f32 v6, v151, s[8:9] offset:8            // 00000000B158: DD348008 00089706
	global_atomic_add_f32 v6, v155, s[8:9] offset:264          // 00000000B160: DD348108 00089B06
	s_mov_b64 exec, s[36:37]                                   // 00000000B168: BEFE0124
	v_mov_b32_e32 v6, v64                                      // 00000000B16C: 7E0C0340
	s_mov_b64 s[60:61], 0                                      // 00000000B170: BEBC0180
	v_readlane_b32 s82, v3, 12                                 // 00000000B174: D2890052 00011903
	s_and_b32 s82, s82, 0xffffff                               // 00000000B17C: 8652FF52 00FFFFFF
	s_cmp_lt_u32 s82, s66                                      // 00000000B184: BF0A4252
	s_cselect_b32 s20, s36, s60                                // 00000000B188: 85143C24
	v_readlane_b32 s82, v3, 13                                 // 00000000B18C: D2890052 00011B03
	s_and_b32 s82, s82, 0xffffff                               // 00000000B194: 8652FF52 00FFFFFF
	s_cmp_lt_u32 s82, s66                                      // 00000000B19C: BF0A4252
	s_cselect_b32 s21, s36, s60                                // 00000000B1A0: 85153C24
	s_mov_b64 exec, s[20:21]                                   // 00000000B1A4: BEFE0114
	global_atomic_add_f32 v6, v158, s[8:9] offset:8            // 00000000B1A8: DD348008 00089E06
	global_atomic_add_f32 v6, v162, s[8:9] offset:264          // 00000000B1B0: DD348108 0008A206
	s_mov_b64 exec, s[36:37]                                   // 00000000B1B8: BEFE0124
	v_mov_b32_e32 v6, v65                                      // 00000000B1BC: 7E0C0341
	s_mov_b64 s[60:61], 0                                      // 00000000B1C0: BEBC0180
	v_readlane_b32 s82, v3, 14                                 // 00000000B1C4: D2890052 00011D03
	s_and_b32 s82, s82, 0xffffff                               // 00000000B1CC: 8652FF52 00FFFFFF
	s_cmp_lt_u32 s82, s66                                      // 00000000B1D4: BF0A4252
	s_cselect_b32 s20, s36, s60                                // 00000000B1D8: 85143C24
	v_readlane_b32 s82, v3, 15                                 // 00000000B1DC: D2890052 00011F03
	s_and_b32 s82, s82, 0xffffff                               // 00000000B1E4: 8652FF52 00FFFFFF
	s_cmp_lt_u32 s82, s66                                      // 00000000B1EC: BF0A4252
	s_cselect_b32 s21, s36, s60                                // 00000000B1F0: 85153C24
	s_mov_b64 exec, s[20:21]                                   // 00000000B1F4: BEFE0114
	global_atomic_add_f32 v6, v159, s[8:9] offset:8            // 00000000B1F8: DD348008 00089F06
	global_atomic_add_f32 v6, v163, s[8:9] offset:264          // 00000000B200: DD348108 0008A306
	s_mov_b64 exec, s[36:37]                                   // 00000000B208: BEFE0124
	v_mov_b32_e32 v6, v66                                      // 00000000B20C: 7E0C0342
	s_mov_b64 s[60:61], 0                                      // 00000000B210: BEBC0180
	v_readlane_b32 s82, v3, 16                                 // 00000000B214: D2890052 00012103
	s_and_b32 s82, s82, 0xffffff                               // 00000000B21C: 8652FF52 00FFFFFF
	s_cmp_lt_u32 s82, s66                                      // 00000000B224: BF0A4252
	s_cselect_b32 s20, s36, s60                                // 00000000B228: 85143C24
	v_readlane_b32 s82, v3, 17                                 // 00000000B22C: D2890052 00012303
	s_and_b32 s82, s82, 0xffffff                               // 00000000B234: 8652FF52 00FFFFFF
	s_cmp_lt_u32 s82, s66                                      // 00000000B23C: BF0A4252
	s_cselect_b32 s21, s36, s60                                // 00000000B240: 85153C24
	s_mov_b64 exec, s[20:21]                                   // 00000000B244: BEFE0114
	global_atomic_add_f32 v6, v166, s[8:9] offset:8            // 00000000B248: DD348008 0008A606
	global_atomic_add_f32 v6, v170, s[8:9] offset:264          // 00000000B250: DD348108 0008AA06
	s_mov_b64 exec, s[36:37]                                   // 00000000B258: BEFE0124
	v_mov_b32_e32 v6, v67                                      // 00000000B25C: 7E0C0343
	s_mov_b64 s[60:61], 0                                      // 00000000B260: BEBC0180
	v_readlane_b32 s82, v3, 18                                 // 00000000B264: D2890052 00012503
	s_and_b32 s82, s82, 0xffffff                               // 00000000B26C: 8652FF52 00FFFFFF
	s_cmp_lt_u32 s82, s66                                      // 00000000B274: BF0A4252
	s_cselect_b32 s20, s36, s60                                // 00000000B278: 85143C24
	v_readlane_b32 s82, v3, 19                                 // 00000000B27C: D2890052 00012703
	s_and_b32 s82, s82, 0xffffff                               // 00000000B284: 8652FF52 00FFFFFF
	s_cmp_lt_u32 s82, s66                                      // 00000000B28C: BF0A4252
	s_cselect_b32 s21, s36, s60                                // 00000000B290: 85153C24
	s_mov_b64 exec, s[20:21]                                   // 00000000B294: BEFE0114
	global_atomic_add_f32 v6, v167, s[8:9] offset:8            // 00000000B298: DD348008 0008A706
	global_atomic_add_f32 v6, v171, s[8:9] offset:264          // 00000000B2A0: DD348108 0008AB06
	s_mov_b64 exec, s[36:37]                                   // 00000000B2A8: BEFE0124
	v_mov_b32_e32 v6, v68                                      // 00000000B2AC: 7E0C0344
	s_mov_b64 s[60:61], 0                                      // 00000000B2B0: BEBC0180
	v_readlane_b32 s82, v3, 20                                 // 00000000B2B4: D2890052 00012903
	s_and_b32 s82, s82, 0xffffff                               // 00000000B2BC: 8652FF52 00FFFFFF
	s_cmp_lt_u32 s82, s66                                      // 00000000B2C4: BF0A4252
	s_cselect_b32 s20, s36, s60                                // 00000000B2C8: 85143C24
	v_readlane_b32 s82, v3, 21                                 // 00000000B2CC: D2890052 00012B03
	s_and_b32 s82, s82, 0xffffff                               // 00000000B2D4: 8652FF52 00FFFFFF
	s_cmp_lt_u32 s82, s66                                      // 00000000B2DC: BF0A4252
	s_cselect_b32 s21, s36, s60                                // 00000000B2E0: 85153C24
	s_mov_b64 exec, s[20:21]                                   // 00000000B2E4: BEFE0114
	global_atomic_add_f32 v6, v174, s[8:9] offset:8            // 00000000B2E8: DD348008 0008AE06
	global_atomic_add_f32 v6, v178, s[8:9] offset:264          // 00000000B2F0: DD348108 0008B206
	s_mov_b64 exec, s[36:37]                                   // 00000000B2F8: BEFE0124
	v_mov_b32_e32 v6, v69                                      // 00000000B2FC: 7E0C0345
	s_mov_b64 s[60:61], 0                                      // 00000000B300: BEBC0180
	v_readlane_b32 s82, v3, 22                                 // 00000000B304: D2890052 00012D03
	s_and_b32 s82, s82, 0xffffff                               // 00000000B30C: 8652FF52 00FFFFFF
	s_cmp_lt_u32 s82, s66                                      // 00000000B314: BF0A4252
	s_cselect_b32 s20, s36, s60                                // 00000000B318: 85143C24
	v_readlane_b32 s82, v3, 23                                 // 00000000B31C: D2890052 00012F03
	s_and_b32 s82, s82, 0xffffff                               // 00000000B324: 8652FF52 00FFFFFF
	s_cmp_lt_u32 s82, s66                                      // 00000000B32C: BF0A4252
	s_cselect_b32 s21, s36, s60                                // 00000000B330: 85153C24
	s_mov_b64 exec, s[20:21]                                   // 00000000B334: BEFE0114
	global_atomic_add_f32 v6, v175, s[8:9] offset:8            // 00000000B338: DD348008 0008AF06
	global_atomic_add_f32 v6, v179, s[8:9] offset:264          // 00000000B340: DD348108 0008B306
	s_mov_b64 exec, s[36:37]                                   // 00000000B348: BEFE0124
	v_mov_b32_e32 v6, v70                                      // 00000000B34C: 7E0C0346
	s_mov_b64 s[60:61], 0                                      // 00000000B350: BEBC0180
	v_readlane_b32 s82, v3, 24                                 // 00000000B354: D2890052 00013103
	s_and_b32 s82, s82, 0xffffff                               // 00000000B35C: 8652FF52 00FFFFFF
	s_cmp_lt_u32 s82, s66                                      // 00000000B364: BF0A4252
	s_cselect_b32 s20, s36, s60                                // 00000000B368: 85143C24
	v_readlane_b32 s82, v3, 25                                 // 00000000B36C: D2890052 00013303
	s_and_b32 s82, s82, 0xffffff                               // 00000000B374: 8652FF52 00FFFFFF
	s_cmp_lt_u32 s82, s66                                      // 00000000B37C: BF0A4252
	s_cselect_b32 s21, s36, s60                                // 00000000B380: 85153C24
	s_mov_b64 exec, s[20:21]                                   // 00000000B384: BEFE0114
	global_atomic_add_f32 v6, v182, s[8:9] offset:8            // 00000000B388: DD348008 0008B606
	global_atomic_add_f32 v6, v186, s[8:9] offset:264          // 00000000B390: DD348108 0008BA06
	s_mov_b64 exec, s[36:37]                                   // 00000000B398: BEFE0124
	v_mov_b32_e32 v6, v71                                      // 00000000B39C: 7E0C0347
	s_mov_b64 s[60:61], 0                                      // 00000000B3A0: BEBC0180
	v_readlane_b32 s82, v3, 26                                 // 00000000B3A4: D2890052 00013503
	s_and_b32 s82, s82, 0xffffff                               // 00000000B3AC: 8652FF52 00FFFFFF
	s_cmp_lt_u32 s82, s66                                      // 00000000B3B4: BF0A4252
	s_cselect_b32 s20, s36, s60                                // 00000000B3B8: 85143C24
	v_readlane_b32 s82, v3, 27                                 // 00000000B3BC: D2890052 00013703
	s_and_b32 s82, s82, 0xffffff                               // 00000000B3C4: 8652FF52 00FFFFFF
	s_cmp_lt_u32 s82, s66                                      // 00000000B3CC: BF0A4252
	s_cselect_b32 s21, s36, s60                                // 00000000B3D0: 85153C24
	s_mov_b64 exec, s[20:21]                                   // 00000000B3D4: BEFE0114
	global_atomic_add_f32 v6, v183, s[8:9] offset:8            // 00000000B3D8: DD348008 0008B706
	global_atomic_add_f32 v6, v187, s[8:9] offset:264          // 00000000B3E0: DD348108 0008BB06
	s_mov_b64 exec, s[36:37]                                   // 00000000B3E8: BEFE0124
	s_branch label_4190                                        // 00000000B3EC: BF821F11

000000000000b3f0 <label_227F>:
	s_waitcnt vmcnt(26) lgkmcnt(0)                             // 00000000B3F0: BF8C407A
	v_mul_f32_dpp v4, v24, v37 row_newbcast:0 row_mask:0xf bank_mask:0xf// 00000000B3F4: 0A084AFA FF015018
	v_mfma_f32_16x16x32_fp8_fp8 v[8:11], a[112:113], a[0:1], 0 // 00000000B3FC: D3F30008 1A020170
	buffer_load_dword v25, v22, s[32:35], 0 offen              // 00000000B404: E0501000 80081916
	buffer_load_dwordx4 a[144:147], v72, s[24:27], 0 offen     // 00000000B40C: E05C1000 80869048
	v_mfma_f32_16x16x32_fp8_fp8 v[8:11], a[114:115], a[2:3], v[8:11]// 00000000B414: D3F30008 1C220572
	v_mfma_f32_16x16x32_fp8_fp8 v[8:11], a[116:117], a[4:5], v[8:11]// 00000000B41C: D3F30008 1C220974
	v_mfma_f32_16x16x32_fp8_fp8 v[8:11], a[118:119], a[6:7], v[8:11]// 00000000B424: D3F30008 1C220D76
	v_mfma_f32_16x16x32_fp8_fp8 v[12:15], a[120:121], a[0:1], 0// 00000000B42C: D3F3000C 1A020178
	buffer_load_dwordx4 a[148:151], v72, s[24:27], 0 offen offset:1024// 00000000B434: E05C1400 80869448
	v_mfma_f32_16x16x32_fp8_fp8 v[12:15], a[122:123], a[2:3], v[12:15]// 00000000B43C: D3F3000C 1C32057A
	v_mfma_f32_16x16x32_fp8_fp8 v[12:15], a[124:125], a[4:5], v[12:15]// 00000000B444: D3F3000C 1C32097C
	v_mfma_f32_16x16x32_fp8_fp8 v[12:15], a[126:127], a[6:7], v[12:15]// 00000000B44C: D3F3000C 1C320D7E
	v_fma_f32 v76, v8, v4, v76                                 // 00000000B454: D1CB004C 05320908
	v_fma_f32 v77, v9, v4, v77                                 // 00000000B45C: D1CB004D 05360909
	v_fma_f32 v78, v10, v4, v78                                // 00000000B464: D1CB004E 053A090A
	v_fma_f32 v79, v11, v4, v79                                // 00000000B46C: D1CB004F 053E090B
	v_mul_f32_dpp v6, v24, v38 row_newbcast:0 row_mask:0xf bank_mask:0xf// 00000000B474: 0A0C4CFA FF015018
	v_mfma_f32_16x16x32_fp8_fp8 v[8:11], a[112:113], a[8:9], 0 // 00000000B47C: D3F30008 1A021170
	buffer_load_dwordx4 a[152:155], v73, s[24:27], 0 offen     // 00000000B484: E05C1000 80869849
	v_mfma_f32_16x16x32_fp8_fp8 v[8:11], a[114:115], a[10:11], v[8:11]// 00000000B48C: D3F30008 1C221572
	v_mfma_f32_16x16x32_fp8_fp8 v[8:11], a[116:117], a[12:13], v[8:11]// 00000000B494: D3F30008 1C221974
	v_mfma_f32_16x16x32_fp8_fp8 v[8:11], a[118:119], a[14:15], v[8:11]// 00000000B49C: D3F30008 1C221D76
	v_fma_f32 v104, v12, v4, v104                              // 00000000B4A4: D1CB0068 05A2090C
	v_fma_f32 v105, v13, v4, v105                              // 00000000B4AC: D1CB0069 05A6090D
	v_fma_f32 v106, v14, v4, v106                              // 00000000B4B4: D1CB006A 05AA090E
	v_fma_f32 v107, v15, v4, v107                              // 00000000B4BC: D1CB006B 05AE090F
	v_mfma_f32_16x16x32_fp8_fp8 v[12:15], a[120:121], a[8:9], 0// 00000000B4C4: D3F3000C 1A021178
	buffer_load_dwordx4 a[156:159], v73, s[24:27], 0 offen offset:1024// 00000000B4CC: E05C1400 80869C49
	buffer_load_dword v58, s[20:23], 0 offen lds               // 00000000B4D4: E0511000 8005003A
	s_add_u32 m0, 0x100, s50                                   // 00000000B4DC: 807C32FF 00000100
	v_mfma_f32_16x16x32_fp8_fp8 v[12:15], a[122:123], a[10:11], v[12:15]// 00000000B4E4: D3F3000C 1C32157A
	v_mfma_f32_16x16x32_fp8_fp8 v[12:15], a[124:125], a[12:13], v[12:15]// 00000000B4EC: D3F3000C 1C32197C
	buffer_load_dword v59, s[20:23], 0 offen lds               // 00000000B4F4: E0511000 8005003B
	s_add_u32 m0, 0x200, s50                                   // 00000000B4FC: 807C32FF 00000200
	v_mfma_f32_16x16x32_fp8_fp8 v[12:15], a[126:127], a[14:15], v[12:15]// 00000000B504: D3F3000C 1C321D7E
	v_fma_f32 v80, v8, v6, v80                                 // 00000000B50C: D1CB0050 05420D08
	v_fma_f32 v81, v9, v6, v81                                 // 00000000B514: D1CB0051 05460D09
	v_fma_f32 v82, v10, v6, v82                                // 00000000B51C: D1CB0052 054A0D0A
	v_fma_f32 v83, v11, v6, v83                                // 00000000B524: D1CB0053 054E0D0B
	v_mul_f32_dpp v4, v24, v39 row_newbcast:0 row_mask:0xf bank_mask:0xf// 00000000B52C: 0A084EFA FF015018
	v_mfma_f32_16x16x32_fp8_fp8 v[8:11], a[112:113], a[16:17], 0// 00000000B534: D3F30008 1A022170
	buffer_load_dword v60, s[20:23], 0 offen lds               // 00000000B53C: E0511000 8005003C
	s_add_u32 m0, 0x300, s50                                   // 00000000B544: 807C32FF 00000300
	v_mfma_f32_16x16x32_fp8_fp8 v[8:11], a[114:115], a[18:19], v[8:11]// 00000000B54C: D3F30008 1C222572
	v_mfma_f32_16x16x32_fp8_fp8 v[8:11], a[116:117], a[20:21], v[8:11]// 00000000B554: D3F30008 1C222974
	buffer_load_dword v61, s[20:23], 0 offen lds               // 00000000B55C: E0511000 8005003D
	s_add_u32 m0, 0x400, s50                                   // 00000000B564: 807C32FF 00000400
	v_mfma_f32_16x16x32_fp8_fp8 v[8:11], a[118:119], a[22:23], v[8:11]// 00000000B56C: D3F30008 1C222D76
	v_fma_f32 v108, v12, v6, v108                              // 00000000B574: D1CB006C 05B20D0C
	v_fma_f32 v109, v13, v6, v109                              // 00000000B57C: D1CB006D 05B60D0D
	v_fma_f32 v110, v14, v6, v110                              // 00000000B584: D1CB006E 05BA0D0E
	v_fma_f32 v111, v15, v6, v111                              // 00000000B58C: D1CB006F 05BE0D0F
	v_mfma_f32_16x16x32_fp8_fp8 v[12:15], a[120:121], a[16:17], 0// 00000000B594: D3F3000C 1A022178
	buffer_load_dword v62, s[20:23], 0 offen lds               // 00000000B59C: E0511000 8005003E
	s_add_u32 m0, 0x500, s50                                   // 00000000B5A4: 807C32FF 00000500
	v_mfma_f32_16x16x32_fp8_fp8 v[12:15], a[122:123], a[18:19], v[12:15]// 00000000B5AC: D3F3000C 1C32257A
	v_mfma_f32_16x16x32_fp8_fp8 v[12:15], a[124:125], a[20:21], v[12:15]// 00000000B5B4: D3F3000C 1C32297C
	buffer_load_dword v63, s[20:23], 0 offen lds               // 00000000B5BC: E0511000 8005003F
	s_add_u32 m0, 0x600, s50                                   // 00000000B5C4: 807C32FF 00000600
	v_mfma_f32_16x16x32_fp8_fp8 v[12:15], a[126:127], a[22:23], v[12:15]// 00000000B5CC: D3F3000C 1C322D7E
	v_fma_f32 v84, v8, v4, v84                                 // 00000000B5D4: D1CB0054 05520908
	v_fma_f32 v85, v9, v4, v85                                 // 00000000B5DC: D1CB0055 05560909
	v_fma_f32 v86, v10, v4, v86                                // 00000000B5E4: D1CB0056 055A090A
	v_fma_f32 v87, v11, v4, v87                                // 00000000B5EC: D1CB0057 055E090B
	v_mul_f32_dpp v6, v24, v40 row_newbcast:0 row_mask:0xf bank_mask:0xf// 00000000B5F4: 0A0C50FA FF015018
	v_mfma_f32_16x16x32_fp8_fp8 v[8:11], a[112:113], a[24:25], 0// 00000000B5FC: D3F30008 1A023170
	buffer_load_dword v64, s[20:23], 0 offen lds               // 00000000B604: E0511000 80050040
	s_add_u32 m0, 0x700, s50                                   // 00000000B60C: 807C32FF 00000700
	v_mfma_f32_16x16x32_fp8_fp8 v[8:11], a[114:115], a[26:27], v[8:11]// 00000000B614: D3F30008 1C223572
	v_mfma_f32_16x16x32_fp8_fp8 v[8:11], a[116:117], a[28:29], v[8:11]// 00000000B61C: D3F30008 1C223974
	buffer_load_dword v65, s[20:23], 0 offen lds               // 00000000B624: E0511000 80050041
	s_add_u32 m0, 0x800, s50                                   // 00000000B62C: 807C32FF 00000800
	v_mfma_f32_16x16x32_fp8_fp8 v[8:11], a[118:119], a[30:31], v[8:11]// 00000000B634: D3F30008 1C223D76
	v_fma_f32 v112, v12, v4, v112                              // 00000000B63C: D1CB0070 05C2090C
	v_fma_f32 v113, v13, v4, v113                              // 00000000B644: D1CB0071 05C6090D
	v_fma_f32 v114, v14, v4, v114                              // 00000000B64C: D1CB0072 05CA090E
	v_fma_f32 v115, v15, v4, v115                              // 00000000B654: D1CB0073 05CE090F
	v_mfma_f32_16x16x32_fp8_fp8 v[12:15], a[120:121], a[24:25], 0// 00000000B65C: D3F3000C 1A023178
	buffer_load_dword v66, s[20:23], 0 offen lds               // 00000000B664: E0511000 80050042
	s_add_u32 m0, 0x900, s50                                   // 00000000B66C: 807C32FF 00000900
	v_mfma_f32_16x16x32_fp8_fp8 v[12:15], a[122:123], a[26:27], v[12:15]// 00000000B674: D3F3000C 1C32357A
	v_mfma_f32_16x16x32_fp8_fp8 v[12:15], a[124:125], a[28:29], v[12:15]// 00000000B67C: D3F3000C 1C32397C
	buffer_load_dword v67, s[20:23], 0 offen lds               // 00000000B684: E0511000 80050043
	s_add_u32 m0, 0xa00, s50                                   // 00000000B68C: 807C32FF 00000A00
	v_mfma_f32_16x16x32_fp8_fp8 v[12:15], a[126:127], a[30:31], v[12:15]// 00000000B694: D3F3000C 1C323D7E
	v_fma_f32 v88, v8, v6, v88                                 // 00000000B69C: D1CB0058 05620D08
	v_fma_f32 v89, v9, v6, v89                                 // 00000000B6A4: D1CB0059 05660D09
	v_fma_f32 v90, v10, v6, v90                                // 00000000B6AC: D1CB005A 056A0D0A
	v_fma_f32 v91, v11, v6, v91                                // 00000000B6B4: D1CB005B 056E0D0B
	v_mul_f32_dpp v4, v24, v41 row_newbcast:0 row_mask:0xf bank_mask:0xf// 00000000B6BC: 0A0852FA FF015018
	v_mfma_f32_16x16x32_fp8_fp8 v[8:11], a[112:113], a[32:33], 0// 00000000B6C4: D3F30008 1A024170
	buffer_load_dword v68, s[20:23], 0 offen lds               // 00000000B6CC: E0511000 80050044
	s_add_u32 m0, 0xb00, s50                                   // 00000000B6D4: 807C32FF 00000B00
	v_mfma_f32_16x16x32_fp8_fp8 v[8:11], a[114:115], a[34:35], v[8:11]// 00000000B6DC: D3F30008 1C224572
	v_mfma_f32_16x16x32_fp8_fp8 v[8:11], a[116:117], a[36:37], v[8:11]// 00000000B6E4: D3F30008 1C224974
	buffer_load_dword v69, s[20:23], 0 offen lds               // 00000000B6EC: E0511000 80050045
	s_add_u32 m0, 0xc00, s50                                   // 00000000B6F4: 807C32FF 00000C00
	v_mfma_f32_16x16x32_fp8_fp8 v[8:11], a[118:119], a[38:39], v[8:11]// 00000000B6FC: D3F30008 1C224D76
	v_fma_f32 v116, v12, v6, v116                              // 00000000B704: D1CB0074 05D20D0C
	v_fma_f32 v117, v13, v6, v117                              // 00000000B70C: D1CB0075 05D60D0D
	v_fma_f32 v118, v14, v6, v118                              // 00000000B714: D1CB0076 05DA0D0E
	v_fma_f32 v119, v15, v6, v119                              // 00000000B71C: D1CB0077 05DE0D0F
	v_mfma_f32_16x16x32_fp8_fp8 v[12:15], a[120:121], a[32:33], 0// 00000000B724: D3F3000C 1A024178
	buffer_load_dword v70, s[20:23], 0 offen lds               // 00000000B72C: E0511000 80050046
	s_add_u32 m0, 0xd00, s50                                   // 00000000B734: 807C32FF 00000D00
	v_mfma_f32_16x16x32_fp8_fp8 v[12:15], a[122:123], a[34:35], v[12:15]// 00000000B73C: D3F3000C 1C32457A
	v_mfma_f32_16x16x32_fp8_fp8 v[12:15], a[124:125], a[36:37], v[12:15]// 00000000B744: D3F3000C 1C32497C
	buffer_load_dword v71, s[20:23], 0 offen lds               // 00000000B74C: E0511000 80050047
	s_add_u32 m0, 0, s48                                       // 00000000B754: 807C3080
	v_mfma_f32_16x16x32_fp8_fp8 v[12:15], a[126:127], a[38:39], v[12:15]// 00000000B758: D3F3000C 1C324D7E
	v_fma_f32 v92, v8, v4, v92                                 // 00000000B760: D1CB005C 05720908
	v_fma_f32 v93, v9, v4, v93                                 // 00000000B768: D1CB005D 05760909
	v_fma_f32 v94, v10, v4, v94                                // 00000000B770: D1CB005E 057A090A
	v_fma_f32 v95, v11, v4, v95                                // 00000000B778: D1CB005F 057E090B
	v_mul_f32_dpp v6, v24, v42 row_newbcast:0 row_mask:0xf bank_mask:0xf// 00000000B780: 0A0C54FA FF015018
	v_mfma_f32_16x16x32_fp8_fp8 v[8:11], a[112:113], a[40:41], 0// 00000000B788: D3F30008 1A025170
	buffer_load_dword v51, v30, s[28:31], 0 offen              // 00000000B790: E0501000 8007331E
	v_mfma_f32_16x16x32_fp8_fp8 v[8:11], a[114:115], a[42:43], v[8:11]// 00000000B798: D3F30008 1C225572
	v_mfma_f32_16x16x32_fp8_fp8 v[8:11], a[116:117], a[44:45], v[8:11]// 00000000B7A0: D3F30008 1C225974
	buffer_load_dword v52, v31, s[28:31], 0 offen              // 00000000B7A8: E0501000 8007341F
	v_mfma_f32_16x16x32_fp8_fp8 v[8:11], a[118:119], a[46:47], v[8:11]// 00000000B7B0: D3F30008 1C225D76
	v_fma_f32 v120, v12, v4, v120                              // 00000000B7B8: D1CB0078 05E2090C
	v_fma_f32 v121, v13, v4, v121                              // 00000000B7C0: D1CB0079 05E6090D
	v_fma_f32 v122, v14, v4, v122                              // 00000000B7C8: D1CB007A 05EA090E
	v_fma_f32 v123, v15, v4, v123                              // 00000000B7D0: D1CB007B 05EE090F
	v_mfma_f32_16x16x32_fp8_fp8 v[12:15], a[120:121], a[40:41], 0// 00000000B7D8: D3F3000C 1A025178
	buffer_load_dword v53, v32, s[28:31], 0 offen              // 00000000B7E0: E0501000 80073520
	v_mfma_f32_16x16x32_fp8_fp8 v[12:15], a[122:123], a[42:43], v[12:15]// 00000000B7E8: D3F3000C 1C32557A
	v_mfma_f32_16x16x32_fp8_fp8 v[12:15], a[124:125], a[44:45], v[12:15]// 00000000B7F0: D3F3000C 1C32597C
	buffer_load_dword v54, v33, s[28:31], 0 offen              // 00000000B7F8: E0501000 80073621
	v_mfma_f32_16x16x32_fp8_fp8 v[12:15], a[126:127], a[46:47], v[12:15]// 00000000B800: D3F3000C 1C325D7E
	v_fma_f32 v96, v8, v6, v96                                 // 00000000B808: D1CB0060 05820D08
	v_fma_f32 v97, v9, v6, v97                                 // 00000000B810: D1CB0061 05860D09
	v_fma_f32 v98, v10, v6, v98                                // 00000000B818: D1CB0062 058A0D0A
	v_fma_f32 v99, v11, v6, v99                                // 00000000B820: D1CB0063 058E0D0B
	v_mul_f32_dpp v4, v24, v43 row_newbcast:0 row_mask:0xf bank_mask:0xf// 00000000B828: 0A0856FA FF015018
	v_mfma_f32_16x16x32_fp8_fp8 v[8:11], a[112:113], a[48:49], 0// 00000000B830: D3F30008 1A026170
	buffer_load_dword v55, v34, s[28:31], 0 offen              // 00000000B838: E0501000 80073722
	v_mfma_f32_16x16x32_fp8_fp8 v[8:11], a[114:115], a[50:51], v[8:11]// 00000000B840: D3F30008 1C226572
	v_mfma_f32_16x16x32_fp8_fp8 v[8:11], a[116:117], a[52:53], v[8:11]// 00000000B848: D3F30008 1C226974
	buffer_load_dword v56, v35, s[28:31], 0 offen              // 00000000B850: E0501000 80073823
	v_mfma_f32_16x16x32_fp8_fp8 v[8:11], a[118:119], a[54:55], v[8:11]// 00000000B858: D3F30008 1C226D76
	v_fma_f32 v124, v12, v6, v124                              // 00000000B860: D1CB007C 05F20D0C
	v_fma_f32 v125, v13, v6, v125                              // 00000000B868: D1CB007D 05F60D0D
	v_fma_f32 v126, v14, v6, v126                              // 00000000B870: D1CB007E 05FA0D0E
	v_fma_f32 v127, v15, v6, v127                              // 00000000B878: D1CB007F 05FE0D0F
	v_mfma_f32_16x16x32_fp8_fp8 v[12:15], a[120:121], a[48:49], 0// 00000000B880: D3F3000C 1A026178
	buffer_load_dword v57, v36, s[28:31], 0 offen              // 00000000B888: E0501000 80073924
	v_mfma_f32_16x16x32_fp8_fp8 v[12:15], a[122:123], a[50:51], v[12:15]// 00000000B890: D3F3000C 1C32657A
	v_mfma_f32_16x16x32_fp8_fp8 v[12:15], a[124:125], a[52:53], v[12:15]// 00000000B898: D3F3000C 1C32697C
	v_mfma_f32_16x16x32_fp8_fp8 v[12:15], a[126:127], a[54:55], v[12:15]// 00000000B8A0: D3F3000C 1C326D7E
	v_fma_f32 v100, v8, v4, v100                               // 00000000B8A8: D1CB0064 05920908
	v_fma_f32 v101, v9, v4, v101                               // 00000000B8B0: D1CB0065 05960909
	v_fma_f32 v102, v10, v4, v102                              // 00000000B8B8: D1CB0066 059A090A
	v_fma_f32 v103, v11, v4, v103                              // 00000000B8C0: D1CB0067 059E090B
	v_fma_f32 v128, v12, v4, v128                              // 00000000B8C8: D1CB0080 0602090C
	v_fma_f32 v129, v13, v4, v129                              // 00000000B8D0: D1CB0081 0606090D
	v_fma_f32 v130, v14, v4, v130                              // 00000000B8D8: D1CB0082 060A090E
	v_fma_f32 v131, v15, v4, v131                              // 00000000B8E0: D1CB0083 060E090F
	s_waitcnt vmcnt(26)                                        // 00000000B8E8: BF8C4F7A
	s_barrier                                                  // 00000000B8EC: BF8A0000
	v_mul_f32_dpp v4, v27, v37 row_newbcast:0 row_mask:0xf bank_mask:0xf// 00000000B8F0: 0A084AFA FF01501B
	v_mfma_f32_16x16x32_fp8_fp8 v[8:11], a[128:129], a[0:1], 0 // 00000000B8F8: D3F30008 1A020180
	buffer_load_dword v28, v23, s[32:35], 0 offen              // 00000000B900: E0501000 80081C17
	buffer_load_dwordx4 a[112:115], v72, s[84:87], 0 offen     // 00000000B908: E05C1000 80957048
	v_mfma_f32_16x16x32_fp8_fp8 v[8:11], a[130:131], a[2:3], v[8:11]// 00000000B910: D3F30008 1C220582
	v_mfma_f32_16x16x32_fp8_fp8 v[8:11], a[132:133], a[4:5], v[8:11]// 00000000B918: D3F30008 1C220984
	ds_read_b128 a[56:59], v2 offset:14464                     // 00000000B920: DBFE3880 38000002
	ds_read_b128 a[60:63], v2 offset:14528                     // 00000000B928: DBFE38C0 3C000002
	v_mfma_f32_16x16x32_fp8_fp8 v[8:11], a[134:135], a[6:7], v[8:11]// 00000000B930: D3F30008 1C220D86
	v_mfma_f32_16x16x32_fp8_fp8 v[12:15], a[136:137], a[0:1], 0// 00000000B938: D3F3000C 1A020188
	buffer_load_dwordx4 a[116:119], v72, s[84:87], 0 offen offset:1024// 00000000B940: E05C1400 80957448
	v_mfma_f32_16x16x32_fp8_fp8 v[12:15], a[138:139], a[2:3], v[12:15]// 00000000B948: D3F3000C 1C32058A
	v_mfma_f32_16x16x32_fp8_fp8 v[12:15], a[140:141], a[4:5], v[12:15]// 00000000B950: D3F3000C 1C32098C
	ds_read_b128 a[64:67], v2 offset:14976                     // 00000000B958: DBFE3A80 40000002
	ds_read_b128 a[68:71], v2 offset:15040                     // 00000000B960: DBFE3AC0 44000002
	v_mfma_f32_16x16x32_fp8_fp8 v[12:15], a[142:143], a[6:7], v[12:15]// 00000000B968: D3F3000C 1C320D8E
	v_fma_f32 v132, v8, v4, v132                               // 00000000B970: D1CB0084 06120908
	v_fma_f32 v133, v9, v4, v133                               // 00000000B978: D1CB0085 06160909
	v_fma_f32 v134, v10, v4, v134                              // 00000000B980: D1CB0086 061A090A
	v_fma_f32 v135, v11, v4, v135                              // 00000000B988: D1CB0087 061E090B
	v_mul_f32_dpp v6, v27, v38 row_newbcast:0 row_mask:0xf bank_mask:0xf// 00000000B990: 0A0C4CFA FF01501B
	v_mfma_f32_16x16x32_fp8_fp8 v[8:11], a[128:129], a[8:9], 0 // 00000000B998: D3F30008 1A021180
	buffer_load_dwordx4 a[120:123], v73, s[84:87], 0 offen     // 00000000B9A0: E05C1000 80957849
	v_mfma_f32_16x16x32_fp8_fp8 v[8:11], a[130:131], a[10:11], v[8:11]// 00000000B9A8: D3F30008 1C221582
	v_mfma_f32_16x16x32_fp8_fp8 v[8:11], a[132:133], a[12:13], v[8:11]// 00000000B9B0: D3F30008 1C221984
	ds_read_b128 a[72:75], v2 offset:15488                     // 00000000B9B8: DBFE3C80 48000002
	ds_read_b128 a[76:79], v2 offset:15552                     // 00000000B9C0: DBFE3CC0 4C000002
	v_mfma_f32_16x16x32_fp8_fp8 v[8:11], a[134:135], a[14:15], v[8:11]// 00000000B9C8: D3F30008 1C221D86
	v_fma_f32 v160, v12, v4, v160                              // 00000000B9D0: D1CB00A0 0682090C
	v_fma_f32 v161, v13, v4, v161                              // 00000000B9D8: D1CB00A1 0686090D
	v_fma_f32 v162, v14, v4, v162                              // 00000000B9E0: D1CB00A2 068A090E
	v_fma_f32 v163, v15, v4, v163                              // 00000000B9E8: D1CB00A3 068E090F
	v_mfma_f32_16x16x32_fp8_fp8 v[12:15], a[136:137], a[8:9], 0// 00000000B9F0: D3F3000C 1A021188
	buffer_load_dwordx4 a[124:127], v73, s[84:87], 0 offen offset:1024// 00000000B9F8: E05C1400 80957C49
	v_mfma_f32_16x16x32_fp8_fp8 v[12:15], a[138:139], a[10:11], v[12:15]// 00000000BA00: D3F3000C 1C32158A
	v_mfma_f32_16x16x32_fp8_fp8 v[12:15], a[140:141], a[12:13], v[12:15]// 00000000BA08: D3F3000C 1C32198C
	ds_read_b128 a[80:83], v2 offset:16000                     // 00000000BA10: DBFE3E80 50000002
	ds_read_b128 a[84:87], v2 offset:16064                     // 00000000BA18: DBFE3EC0 54000002
	v_mfma_f32_16x16x32_fp8_fp8 v[12:15], a[142:143], a[14:15], v[12:15]// 00000000BA20: D3F3000C 1C321D8E
	v_fma_f32 v136, v8, v6, v136                               // 00000000BA28: D1CB0088 06220D08
	v_fma_f32 v137, v9, v6, v137                               // 00000000BA30: D1CB0089 06260D09
	v_fma_f32 v138, v10, v6, v138                              // 00000000BA38: D1CB008A 062A0D0A
	v_fma_f32 v139, v11, v6, v139                              // 00000000BA40: D1CB008B 062E0D0B
	v_mul_f32_dpp v4, v27, v39 row_newbcast:0 row_mask:0xf bank_mask:0xf// 00000000BA48: 0A084EFA FF01501B
	v_mfma_f32_16x16x32_fp8_fp8 v[8:11], a[128:129], a[16:17], 0// 00000000BA50: D3F30008 1A022180
	v_mfma_f32_16x16x32_fp8_fp8 v[8:11], a[130:131], a[18:19], v[8:11]// 00000000BA58: D3F30008 1C222582
	v_mfma_f32_16x16x32_fp8_fp8 v[8:11], a[132:133], a[20:21], v[8:11]// 00000000BA60: D3F30008 1C222984
	ds_read_b128 a[88:91], v2 offset:16512                     // 00000000BA68: DBFE4080 58000002
	ds_read_b128 a[92:95], v2 offset:16576                     // 00000000BA70: DBFE40C0 5C000002
	v_mfma_f32_16x16x32_fp8_fp8 v[8:11], a[134:135], a[22:23], v[8:11]// 00000000BA78: D3F30008 1C222D86
	v_fma_f32 v164, v12, v6, v164                              // 00000000BA80: D1CB00A4 06920D0C
	v_fma_f32 v165, v13, v6, v165                              // 00000000BA88: D1CB00A5 06960D0D
	v_fma_f32 v166, v14, v6, v166                              // 00000000BA90: D1CB00A6 069A0D0E
	v_fma_f32 v167, v15, v6, v167                              // 00000000BA98: D1CB00A7 069E0D0F
	v_mfma_f32_16x16x32_fp8_fp8 v[12:15], a[136:137], a[16:17], 0// 00000000BAA0: D3F3000C 1A022188
	v_mfma_f32_16x16x32_fp8_fp8 v[12:15], a[138:139], a[18:19], v[12:15]// 00000000BAA8: D3F3000C 1C32258A
	v_mfma_f32_16x16x32_fp8_fp8 v[12:15], a[140:141], a[20:21], v[12:15]// 00000000BAB0: D3F3000C 1C32298C
	ds_read_b128 a[96:99], v2 offset:17024                     // 00000000BAB8: DBFE4280 60000002
	ds_read_b128 a[100:103], v2 offset:17088                   // 00000000BAC0: DBFE42C0 64000002
	v_mfma_f32_16x16x32_fp8_fp8 v[12:15], a[142:143], a[22:23], v[12:15]// 00000000BAC8: D3F3000C 1C322D8E
	v_fma_f32 v140, v8, v4, v140                               // 00000000BAD0: D1CB008C 06320908
	v_fma_f32 v141, v9, v4, v141                               // 00000000BAD8: D1CB008D 06360909
	v_fma_f32 v142, v10, v4, v142                              // 00000000BAE0: D1CB008E 063A090A
	v_fma_f32 v143, v11, v4, v143                              // 00000000BAE8: D1CB008F 063E090B
	v_mul_f32_dpp v6, v27, v40 row_newbcast:0 row_mask:0xf bank_mask:0xf// 00000000BAF0: 0A0C50FA FF01501B
	v_mfma_f32_16x16x32_fp8_fp8 v[8:11], a[128:129], a[24:25], 0// 00000000BAF8: D3F30008 1A023180
	v_mfma_f32_16x16x32_fp8_fp8 v[8:11], a[130:131], a[26:27], v[8:11]// 00000000BB00: D3F30008 1C223582
	v_mfma_f32_16x16x32_fp8_fp8 v[8:11], a[132:133], a[28:29], v[8:11]// 00000000BB08: D3F30008 1C223984
	ds_read_b128 a[104:107], v2 offset:17536                   // 00000000BB10: DBFE4480 68000002
	ds_read_b128 a[108:111], v2 offset:17600                   // 00000000BB18: DBFE44C0 6C000002
	v_mfma_f32_16x16x32_fp8_fp8 v[8:11], a[134:135], a[30:31], v[8:11]// 00000000BB20: D3F30008 1C223D86
	v_fma_f32 v168, v12, v4, v168                              // 00000000BB28: D1CB00A8 06A2090C
	v_fma_f32 v169, v13, v4, v169                              // 00000000BB30: D1CB00A9 06A6090D
	v_fma_f32 v170, v14, v4, v170                              // 00000000BB38: D1CB00AA 06AA090E
	v_fma_f32 v171, v15, v4, v171                              // 00000000BB40: D1CB00AB 06AE090F
	v_mfma_f32_16x16x32_fp8_fp8 v[12:15], a[136:137], a[24:25], 0// 00000000BB48: D3F3000C 1A023188
	v_mfma_f32_16x16x32_fp8_fp8 v[12:15], a[138:139], a[26:27], v[12:15]// 00000000BB50: D3F3000C 1C32358A
	v_mfma_f32_16x16x32_fp8_fp8 v[12:15], a[140:141], a[28:29], v[12:15]// 00000000BB58: D3F3000C 1C32398C
	v_mfma_f32_16x16x32_fp8_fp8 v[12:15], a[142:143], a[30:31], v[12:15]// 00000000BB60: D3F3000C 1C323D8E
	v_fma_f32 v144, v8, v6, v144                               // 00000000BB68: D1CB0090 06420D08
	v_fma_f32 v145, v9, v6, v145                               // 00000000BB70: D1CB0091 06460D09
	v_fma_f32 v146, v10, v6, v146                              // 00000000BB78: D1CB0092 064A0D0A
	v_fma_f32 v147, v11, v6, v147                              // 00000000BB80: D1CB0093 064E0D0B
	v_mul_f32_dpp v4, v27, v41 row_newbcast:0 row_mask:0xf bank_mask:0xf// 00000000BB88: 0A0852FA FF01501B
	v_mfma_f32_16x16x32_fp8_fp8 v[8:11], a[128:129], a[32:33], 0// 00000000BB90: D3F30008 1A024180
	v_mfma_f32_16x16x32_fp8_fp8 v[8:11], a[130:131], a[34:35], v[8:11]// 00000000BB98: D3F30008 1C224582
	v_mfma_f32_16x16x32_fp8_fp8 v[8:11], a[132:133], a[36:37], v[8:11]// 00000000BBA0: D3F30008 1C224984
	v_mfma_f32_16x16x32_fp8_fp8 v[8:11], a[134:135], a[38:39], v[8:11]// 00000000BBA8: D3F30008 1C224D86
	v_fma_f32 v172, v12, v6, v172                              // 00000000BBB0: D1CB00AC 06B20D0C
	v_fma_f32 v173, v13, v6, v173                              // 00000000BBB8: D1CB00AD 06B60D0D
	v_fma_f32 v174, v14, v6, v174                              // 00000000BBC0: D1CB00AE 06BA0D0E
	v_fma_f32 v175, v15, v6, v175                              // 00000000BBC8: D1CB00AF 06BE0D0F
	v_mfma_f32_16x16x32_fp8_fp8 v[12:15], a[136:137], a[32:33], 0// 00000000BBD0: D3F3000C 1A024188
	v_mfma_f32_16x16x32_fp8_fp8 v[12:15], a[138:139], a[34:35], v[12:15]// 00000000BBD8: D3F3000C 1C32458A
	v_mfma_f32_16x16x32_fp8_fp8 v[12:15], a[140:141], a[36:37], v[12:15]// 00000000BBE0: D3F3000C 1C32498C
	v_mfma_f32_16x16x32_fp8_fp8 v[12:15], a[142:143], a[38:39], v[12:15]// 00000000BBE8: D3F3000C 1C324D8E
	v_fma_f32 v148, v8, v4, v148                               // 00000000BBF0: D1CB0094 06520908
	v_fma_f32 v149, v9, v4, v149                               // 00000000BBF8: D1CB0095 06560909
	v_fma_f32 v150, v10, v4, v150                              // 00000000BC00: D1CB0096 065A090A
	v_fma_f32 v151, v11, v4, v151                              // 00000000BC08: D1CB0097 065E090B
	v_mul_f32_dpp v6, v27, v42 row_newbcast:0 row_mask:0xf bank_mask:0xf// 00000000BC10: 0A0C54FA FF01501B
	v_mfma_f32_16x16x32_fp8_fp8 v[8:11], a[128:129], a[40:41], 0// 00000000BC18: D3F30008 1A025180
	v_mfma_f32_16x16x32_fp8_fp8 v[8:11], a[130:131], a[42:43], v[8:11]// 00000000BC20: D3F30008 1C225582
	v_mfma_f32_16x16x32_fp8_fp8 v[8:11], a[132:133], a[44:45], v[8:11]// 00000000BC28: D3F30008 1C225984
	v_mfma_f32_16x16x32_fp8_fp8 v[8:11], a[134:135], a[46:47], v[8:11]// 00000000BC30: D3F30008 1C225D86
	v_fma_f32 v176, v12, v4, v176                              // 00000000BC38: D1CB00B0 06C2090C
	v_fma_f32 v177, v13, v4, v177                              // 00000000BC40: D1CB00B1 06C6090D
	v_fma_f32 v178, v14, v4, v178                              // 00000000BC48: D1CB00B2 06CA090E
	v_fma_f32 v179, v15, v4, v179                              // 00000000BC50: D1CB00B3 06CE090F
	v_mfma_f32_16x16x32_fp8_fp8 v[12:15], a[136:137], a[40:41], 0// 00000000BC58: D3F3000C 1A025188
	v_mfma_f32_16x16x32_fp8_fp8 v[12:15], a[138:139], a[42:43], v[12:15]// 00000000BC60: D3F3000C 1C32558A
	v_mfma_f32_16x16x32_fp8_fp8 v[12:15], a[140:141], a[44:45], v[12:15]// 00000000BC68: D3F3000C 1C32598C
	v_mfma_f32_16x16x32_fp8_fp8 v[12:15], a[142:143], a[46:47], v[12:15]// 00000000BC70: D3F3000C 1C325D8E
	v_fma_f32 v152, v8, v6, v152                               // 00000000BC78: D1CB0098 06620D08
	v_fma_f32 v153, v9, v6, v153                               // 00000000BC80: D1CB0099 06660D09
	v_fma_f32 v154, v10, v6, v154                              // 00000000BC88: D1CB009A 066A0D0A
	v_fma_f32 v155, v11, v6, v155                              // 00000000BC90: D1CB009B 066E0D0B
	v_mul_f32_dpp v4, v27, v43 row_newbcast:0 row_mask:0xf bank_mask:0xf// 00000000BC98: 0A0856FA FF01501B
	v_mfma_f32_16x16x32_fp8_fp8 v[8:11], a[128:129], a[48:49], 0// 00000000BCA0: D3F30008 1A026180
	s_add_u32 s60, 0x180, s80                                  // 00000000BCA8: 803C50FF 00000180
	s_cmp_lt_u32 s60, s81                                      // 00000000BCB0: BF0A513C
	s_cselect_b32 s57, s57, 0                                  // 00000000BCB4: 85398039
	s_cselect_b32 s3, s3, 0                                    // 00000000BCB8: 85038003
	v_mfma_f32_16x16x32_fp8_fp8 v[8:11], a[130:131], a[50:51], v[8:11]// 00000000BCBC: D3F30008 1C226582
	s_add_u32 s60, 0x100, s80                                  // 00000000BCC4: 803C50FF 00000100
	s_cmp_lt_u32 s60, s81                                      // 00000000BCCC: BF0A513C
	s_cselect_b32 s58, s58, 0                                  // 00000000BCD0: 853A803A
	v_mfma_f32_16x16x32_fp8_fp8 v[8:11], a[132:133], a[52:53], v[8:11]// 00000000BCD4: D3F30008 1C226984
	s_add_u32 s60, 0x100, s80                                  // 00000000BCDC: 803C50FF 00000100
	s_cmp_lt_u32 s60, s81                                      // 00000000BCE4: BF0A513C
	s_cselect_b32 s83, s83, 0                                  // 00000000BCE8: 85538053
	s_cselect_b32 s4, s4, 0                                    // 00000000BCEC: 85048004
	v_mfma_f32_16x16x32_fp8_fp8 v[8:11], a[134:135], a[54:55], v[8:11]// 00000000BCF0: D3F30008 1C226D86
	s_add_u32 s24, s58, s24                                    // 00000000BCF8: 8018183A
	s_addc_u32 s25, 0, s25                                     // 00000000BCFC: 82191980
	v_fma_f32 v180, v12, v6, v180                              // 00000000BD00: D1CB00B4 06D20D0C
	v_fma_f32 v181, v13, v6, v181                              // 00000000BD08: D1CB00B5 06D60D0D
	v_fma_f32 v182, v14, v6, v182                              // 00000000BD10: D1CB00B6 06DA0D0E
	v_fma_f32 v183, v15, v6, v183                              // 00000000BD18: D1CB00B7 06DE0D0F
	v_mfma_f32_16x16x32_fp8_fp8 v[12:15], a[136:137], a[48:49], 0// 00000000BD20: D3F3000C 1A026188
	s_add_u32 s20, s57, s20                                    // 00000000BD28: 80141439
	s_addc_u32 s21, 0, s21                                     // 00000000BD2C: 82151580
	s_add_u32 s28, s3, s28                                     // 00000000BD30: 801C1C03
	s_addc_u32 s29, 0, s29                                     // 00000000BD34: 821D1D80
	v_mfma_f32_16x16x32_fp8_fp8 v[12:15], a[138:139], a[50:51], v[12:15]// 00000000BD38: D3F3000C 1C32658A
	s_add_u32 s84, s83, s84                                    // 00000000BD40: 80545453
	s_addc_u32 s85, 0, s85                                     // 00000000BD44: 82555580
	v_mfma_f32_16x16x32_fp8_fp8 v[12:15], a[140:141], a[52:53], v[12:15]// 00000000BD48: D3F3000C 1C32698C
	s_add_u32 s32, s4, s32                                     // 00000000BD50: 80202004
	s_addc_u32 s33, 0, s33                                     // 00000000BD54: 82212180
	v_mfma_f32_16x16x32_fp8_fp8 v[12:15], a[142:143], a[54:55], v[12:15]// 00000000BD58: D3F3000C 1C326D8E
	v_fma_f32 v156, v8, v4, v156                               // 00000000BD60: D1CB009C 06720908
	v_fma_f32 v157, v9, v4, v157                               // 00000000BD68: D1CB009D 06760909
	v_fma_f32 v158, v10, v4, v158                              // 00000000BD70: D1CB009E 067A090A
	v_fma_f32 v159, v11, v4, v159                              // 00000000BD78: D1CB009F 067E090B
	v_fma_f32 v184, v12, v4, v184                              // 00000000BD80: D1CB00B8 06E2090C
	v_fma_f32 v185, v13, v4, v185                              // 00000000BD88: D1CB00B9 06E6090D
	v_fma_f32 v186, v14, v4, v186                              // 00000000BD90: D1CB00BA 06EA090E
	v_fma_f32 v187, v15, v4, v187                              // 00000000BD98: D1CB00BB 06EE090F
	s_addk_i32 s80, 0x80                                       // 00000000BDA0: B7500080
	s_cmp_lt_i32 s80, s81                                      // 00000000BDA4: BF045150
	s_cbranch_scc0 label_311A                                  // 00000000BDA8: BF840C2C
	s_waitcnt vmcnt(26) lgkmcnt(0)                             // 00000000BDAC: BF8C407A
	v_mul_f32_dpp v4, v25, v44 row_newbcast:0 row_mask:0xf bank_mask:0xf// 00000000BDB0: 0A0858FA FF015019
	v_mfma_f32_16x16x32_fp8_fp8 v[8:11], a[144:145], a[56:57], 0// 00000000BDB8: D3F30008 1A027190
	buffer_load_dword v26, v22, s[32:35], 0 offen              // 00000000BDC0: E0501000 80081A16
	buffer_load_dwordx4 a[128:131], v72, s[24:27], 0 offen     // 00000000BDC8: E05C1000 80868048
	v_mfma_f32_16x16x32_fp8_fp8 v[8:11], a[146:147], a[58:59], v[8:11]// 00000000BDD0: D3F30008 1C227592
	v_mfma_f32_16x16x32_fp8_fp8 v[8:11], a[148:149], a[60:61], v[8:11]// 00000000BDD8: D3F30008 1C227994
	v_mfma_f32_16x16x32_fp8_fp8 v[8:11], a[150:151], a[62:63], v[8:11]// 00000000BDE0: D3F30008 1C227D96
	v_mfma_f32_16x16x32_fp8_fp8 v[12:15], a[152:153], a[56:57], 0// 00000000BDE8: D3F3000C 1A027198
	buffer_load_dwordx4 a[132:135], v72, s[24:27], 0 offen offset:1024// 00000000BDF0: E05C1400 80868448
	v_mfma_f32_16x16x32_fp8_fp8 v[12:15], a[154:155], a[58:59], v[12:15]// 00000000BDF8: D3F3000C 1C32759A
	v_mfma_f32_16x16x32_fp8_fp8 v[12:15], a[156:157], a[60:61], v[12:15]// 00000000BE00: D3F3000C 1C32799C
	v_mfma_f32_16x16x32_fp8_fp8 v[12:15], a[158:159], a[62:63], v[12:15]// 00000000BE08: D3F3000C 1C327D9E
	v_fma_f32 v76, v8, v4, v76                                 // 00000000BE10: D1CB004C 05320908
	v_fma_f32 v77, v9, v4, v77                                 // 00000000BE18: D1CB004D 05360909
	v_fma_f32 v78, v10, v4, v78                                // 00000000BE20: D1CB004E 053A090A
	v_fma_f32 v79, v11, v4, v79                                // 00000000BE28: D1CB004F 053E090B
	v_mul_f32_dpp v6, v25, v45 row_newbcast:0 row_mask:0xf bank_mask:0xf// 00000000BE30: 0A0C5AFA FF015019
	v_mfma_f32_16x16x32_fp8_fp8 v[8:11], a[144:145], a[64:65], 0// 00000000BE38: D3F30008 1A028190
	buffer_load_dwordx4 a[136:139], v73, s[24:27], 0 offen     // 00000000BE40: E05C1000 80868849
	v_mfma_f32_16x16x32_fp8_fp8 v[8:11], a[146:147], a[66:67], v[8:11]// 00000000BE48: D3F30008 1C228592
	v_mfma_f32_16x16x32_fp8_fp8 v[8:11], a[148:149], a[68:69], v[8:11]// 00000000BE50: D3F30008 1C228994
	v_mfma_f32_16x16x32_fp8_fp8 v[8:11], a[150:151], a[70:71], v[8:11]// 00000000BE58: D3F30008 1C228D96
	v_fma_f32 v104, v12, v4, v104                              // 00000000BE60: D1CB0068 05A2090C
	v_fma_f32 v105, v13, v4, v105                              // 00000000BE68: D1CB0069 05A6090D
	v_fma_f32 v106, v14, v4, v106                              // 00000000BE70: D1CB006A 05AA090E
	v_fma_f32 v107, v15, v4, v107                              // 00000000BE78: D1CB006B 05AE090F
	v_mfma_f32_16x16x32_fp8_fp8 v[12:15], a[152:153], a[64:65], 0// 00000000BE80: D3F3000C 1A028198
	buffer_load_dwordx4 a[140:143], v73, s[24:27], 0 offen offset:1024// 00000000BE88: E05C1400 80868C49
	buffer_load_dword v58, s[20:23], 0 offen lds               // 00000000BE90: E0511000 8005003A
	s_add_u32 m0, 0x100, s48                                   // 00000000BE98: 807C30FF 00000100
	v_mfma_f32_16x16x32_fp8_fp8 v[12:15], a[154:155], a[66:67], v[12:15]// 00000000BEA0: D3F3000C 1C32859A
	v_mfma_f32_16x16x32_fp8_fp8 v[12:15], a[156:157], a[68:69], v[12:15]// 00000000BEA8: D3F3000C 1C32899C
	buffer_load_dword v59, s[20:23], 0 offen lds               // 00000000BEB0: E0511000 8005003B
	s_add_u32 m0, 0x200, s48                                   // 00000000BEB8: 807C30FF 00000200
	v_mfma_f32_16x16x32_fp8_fp8 v[12:15], a[158:159], a[70:71], v[12:15]// 00000000BEC0: D3F3000C 1C328D9E
	v_fma_f32 v80, v8, v6, v80                                 // 00000000BEC8: D1CB0050 05420D08
	v_fma_f32 v81, v9, v6, v81                                 // 00000000BED0: D1CB0051 05460D09
	v_fma_f32 v82, v10, v6, v82                                // 00000000BED8: D1CB0052 054A0D0A
	v_fma_f32 v83, v11, v6, v83                                // 00000000BEE0: D1CB0053 054E0D0B
	v_mul_f32_dpp v4, v25, v46 row_newbcast:0 row_mask:0xf bank_mask:0xf// 00000000BEE8: 0A085CFA FF015019
	v_mfma_f32_16x16x32_fp8_fp8 v[8:11], a[144:145], a[72:73], 0// 00000000BEF0: D3F30008 1A029190
	buffer_load_dword v60, s[20:23], 0 offen lds               // 00000000BEF8: E0511000 8005003C
	s_add_u32 m0, 0x300, s48                                   // 00000000BF00: 807C30FF 00000300
	v_mfma_f32_16x16x32_fp8_fp8 v[8:11], a[146:147], a[74:75], v[8:11]// 00000000BF08: D3F30008 1C229592
	v_mfma_f32_16x16x32_fp8_fp8 v[8:11], a[148:149], a[76:77], v[8:11]// 00000000BF10: D3F30008 1C229994
	buffer_load_dword v61, s[20:23], 0 offen lds               // 00000000BF18: E0511000 8005003D
	s_add_u32 m0, 0x400, s48                                   // 00000000BF20: 807C30FF 00000400
	v_mfma_f32_16x16x32_fp8_fp8 v[8:11], a[150:151], a[78:79], v[8:11]// 00000000BF28: D3F30008 1C229D96
	v_fma_f32 v108, v12, v6, v108                              // 00000000BF30: D1CB006C 05B20D0C
	v_fma_f32 v109, v13, v6, v109                              // 00000000BF38: D1CB006D 05B60D0D
	v_fma_f32 v110, v14, v6, v110                              // 00000000BF40: D1CB006E 05BA0D0E
	v_fma_f32 v111, v15, v6, v111                              // 00000000BF48: D1CB006F 05BE0D0F
	v_mfma_f32_16x16x32_fp8_fp8 v[12:15], a[152:153], a[72:73], 0// 00000000BF50: D3F3000C 1A029198
	buffer_load_dword v62, s[20:23], 0 offen lds               // 00000000BF58: E0511000 8005003E
	s_add_u32 m0, 0x500, s48                                   // 00000000BF60: 807C30FF 00000500
	v_mfma_f32_16x16x32_fp8_fp8 v[12:15], a[154:155], a[74:75], v[12:15]// 00000000BF68: D3F3000C 1C32959A
	v_mfma_f32_16x16x32_fp8_fp8 v[12:15], a[156:157], a[76:77], v[12:15]// 00000000BF70: D3F3000C 1C32999C
	buffer_load_dword v63, s[20:23], 0 offen lds               // 00000000BF78: E0511000 8005003F
	s_add_u32 m0, 0x600, s48                                   // 00000000BF80: 807C30FF 00000600
	v_mfma_f32_16x16x32_fp8_fp8 v[12:15], a[158:159], a[78:79], v[12:15]// 00000000BF88: D3F3000C 1C329D9E
	v_fma_f32 v84, v8, v4, v84                                 // 00000000BF90: D1CB0054 05520908
	v_fma_f32 v85, v9, v4, v85                                 // 00000000BF98: D1CB0055 05560909
	v_fma_f32 v86, v10, v4, v86                                // 00000000BFA0: D1CB0056 055A090A
	v_fma_f32 v87, v11, v4, v87                                // 00000000BFA8: D1CB0057 055E090B
	v_mul_f32_dpp v6, v25, v47 row_newbcast:0 row_mask:0xf bank_mask:0xf// 00000000BFB0: 0A0C5EFA FF015019
	v_mfma_f32_16x16x32_fp8_fp8 v[8:11], a[144:145], a[80:81], 0// 00000000BFB8: D3F30008 1A02A190
	buffer_load_dword v64, s[20:23], 0 offen lds               // 00000000BFC0: E0511000 80050040
	s_add_u32 m0, 0x700, s48                                   // 00000000BFC8: 807C30FF 00000700
	v_mfma_f32_16x16x32_fp8_fp8 v[8:11], a[146:147], a[82:83], v[8:11]// 00000000BFD0: D3F30008 1C22A592
	v_mfma_f32_16x16x32_fp8_fp8 v[8:11], a[148:149], a[84:85], v[8:11]// 00000000BFD8: D3F30008 1C22A994
	buffer_load_dword v65, s[20:23], 0 offen lds               // 00000000BFE0: E0511000 80050041
	s_add_u32 m0, 0x800, s48                                   // 00000000BFE8: 807C30FF 00000800
	v_mfma_f32_16x16x32_fp8_fp8 v[8:11], a[150:151], a[86:87], v[8:11]// 00000000BFF0: D3F30008 1C22AD96
	v_fma_f32 v112, v12, v4, v112                              // 00000000BFF8: D1CB0070 05C2090C
	v_fma_f32 v113, v13, v4, v113                              // 00000000C000: D1CB0071 05C6090D
	v_fma_f32 v114, v14, v4, v114                              // 00000000C008: D1CB0072 05CA090E
	v_fma_f32 v115, v15, v4, v115                              // 00000000C010: D1CB0073 05CE090F
	v_mfma_f32_16x16x32_fp8_fp8 v[12:15], a[152:153], a[80:81], 0// 00000000C018: D3F3000C 1A02A198
	buffer_load_dword v66, s[20:23], 0 offen lds               // 00000000C020: E0511000 80050042
	s_add_u32 m0, 0x900, s48                                   // 00000000C028: 807C30FF 00000900
	v_mfma_f32_16x16x32_fp8_fp8 v[12:15], a[154:155], a[82:83], v[12:15]// 00000000C030: D3F3000C 1C32A59A
	v_mfma_f32_16x16x32_fp8_fp8 v[12:15], a[156:157], a[84:85], v[12:15]// 00000000C038: D3F3000C 1C32A99C
	buffer_load_dword v67, s[20:23], 0 offen lds               // 00000000C040: E0511000 80050043
	s_add_u32 m0, 0xa00, s48                                   // 00000000C048: 807C30FF 00000A00
	v_mfma_f32_16x16x32_fp8_fp8 v[12:15], a[158:159], a[86:87], v[12:15]// 00000000C050: D3F3000C 1C32AD9E
	v_fma_f32 v88, v8, v6, v88                                 // 00000000C058: D1CB0058 05620D08
	v_fma_f32 v89, v9, v6, v89                                 // 00000000C060: D1CB0059 05660D09
	v_fma_f32 v90, v10, v6, v90                                // 00000000C068: D1CB005A 056A0D0A
	v_fma_f32 v91, v11, v6, v91                                // 00000000C070: D1CB005B 056E0D0B
	v_mul_f32_dpp v4, v25, v48 row_newbcast:0 row_mask:0xf bank_mask:0xf// 00000000C078: 0A0860FA FF015019
	v_mfma_f32_16x16x32_fp8_fp8 v[8:11], a[144:145], a[88:89], 0// 00000000C080: D3F30008 1A02B190
	buffer_load_dword v68, s[20:23], 0 offen lds               // 00000000C088: E0511000 80050044
	s_add_u32 m0, 0xb00, s48                                   // 00000000C090: 807C30FF 00000B00
	v_mfma_f32_16x16x32_fp8_fp8 v[8:11], a[146:147], a[90:91], v[8:11]// 00000000C098: D3F30008 1C22B592
	v_mfma_f32_16x16x32_fp8_fp8 v[8:11], a[148:149], a[92:93], v[8:11]// 00000000C0A0: D3F30008 1C22B994
	buffer_load_dword v69, s[20:23], 0 offen lds               // 00000000C0A8: E0511000 80050045
	s_add_u32 m0, 0xc00, s48                                   // 00000000C0B0: 807C30FF 00000C00
	v_mfma_f32_16x16x32_fp8_fp8 v[8:11], a[150:151], a[94:95], v[8:11]// 00000000C0B8: D3F30008 1C22BD96
	v_fma_f32 v116, v12, v6, v116                              // 00000000C0C0: D1CB0074 05D20D0C
	v_fma_f32 v117, v13, v6, v117                              // 00000000C0C8: D1CB0075 05D60D0D
	v_fma_f32 v118, v14, v6, v118                              // 00000000C0D0: D1CB0076 05DA0D0E
	v_fma_f32 v119, v15, v6, v119                              // 00000000C0D8: D1CB0077 05DE0D0F
	v_mfma_f32_16x16x32_fp8_fp8 v[12:15], a[152:153], a[88:89], 0// 00000000C0E0: D3F3000C 1A02B198
	buffer_load_dword v70, s[20:23], 0 offen lds               // 00000000C0E8: E0511000 80050046
	s_add_u32 m0, 0xd00, s48                                   // 00000000C0F0: 807C30FF 00000D00
	v_mfma_f32_16x16x32_fp8_fp8 v[12:15], a[154:155], a[90:91], v[12:15]// 00000000C0F8: D3F3000C 1C32B59A
	v_mfma_f32_16x16x32_fp8_fp8 v[12:15], a[156:157], a[92:93], v[12:15]// 00000000C100: D3F3000C 1C32B99C
	buffer_load_dword v71, s[20:23], 0 offen lds               // 00000000C108: E0511000 80050047
	s_add_u32 m0, 0, s49                                       // 00000000C110: 807C3180
	v_mfma_f32_16x16x32_fp8_fp8 v[12:15], a[158:159], a[94:95], v[12:15]// 00000000C114: D3F3000C 1C32BD9E
	v_fma_f32 v92, v8, v4, v92                                 // 00000000C11C: D1CB005C 05720908
	v_fma_f32 v93, v9, v4, v93                                 // 00000000C124: D1CB005D 05760909
	v_fma_f32 v94, v10, v4, v94                                // 00000000C12C: D1CB005E 057A090A
	v_fma_f32 v95, v11, v4, v95                                // 00000000C134: D1CB005F 057E090B
	v_mul_f32_dpp v6, v25, v49 row_newbcast:0 row_mask:0xf bank_mask:0xf// 00000000C13C: 0A0C62FA FF015019
	v_mfma_f32_16x16x32_fp8_fp8 v[8:11], a[144:145], a[96:97], 0// 00000000C144: D3F30008 1A02C190
	buffer_load_dword v37, v30, s[28:31], 0 offen              // 00000000C14C: E0501000 8007251E
	v_mfma_f32_16x16x32_fp8_fp8 v[8:11], a[146:147], a[98:99], v[8:11]// 00000000C154: D3F30008 1C22C592
	v_mfma_f32_16x16x32_fp8_fp8 v[8:11], a[148:149], a[100:101], v[8:11]// 00000000C15C: D3F30008 1C22C994
	buffer_load_dword v38, v31, s[28:31], 0 offen              // 00000000C164: E0501000 8007261F
	v_mfma_f32_16x16x32_fp8_fp8 v[8:11], a[150:151], a[102:103], v[8:11]// 00000000C16C: D3F30008 1C22CD96
	v_fma_f32 v120, v12, v4, v120                              // 00000000C174: D1CB0078 05E2090C
	v_fma_f32 v121, v13, v4, v121                              // 00000000C17C: D1CB0079 05E6090D
	v_fma_f32 v122, v14, v4, v122                              // 00000000C184: D1CB007A 05EA090E
	v_fma_f32 v123, v15, v4, v123                              // 00000000C18C: D1CB007B 05EE090F
	v_mfma_f32_16x16x32_fp8_fp8 v[12:15], a[152:153], a[96:97], 0// 00000000C194: D3F3000C 1A02C198
	buffer_load_dword v39, v32, s[28:31], 0 offen              // 00000000C19C: E0501000 80072720
	v_mfma_f32_16x16x32_fp8_fp8 v[12:15], a[154:155], a[98:99], v[12:15]// 00000000C1A4: D3F3000C 1C32C59A
	v_mfma_f32_16x16x32_fp8_fp8 v[12:15], a[156:157], a[100:101], v[12:15]// 00000000C1AC: D3F3000C 1C32C99C
	buffer_load_dword v40, v33, s[28:31], 0 offen              // 00000000C1B4: E0501000 80072821
	v_mfma_f32_16x16x32_fp8_fp8 v[12:15], a[158:159], a[102:103], v[12:15]// 00000000C1BC: D3F3000C 1C32CD9E
	v_fma_f32 v96, v8, v6, v96                                 // 00000000C1C4: D1CB0060 05820D08
	v_fma_f32 v97, v9, v6, v97                                 // 00000000C1CC: D1CB0061 05860D09
	v_fma_f32 v98, v10, v6, v98                                // 00000000C1D4: D1CB0062 058A0D0A
	v_fma_f32 v99, v11, v6, v99                                // 00000000C1DC: D1CB0063 058E0D0B
	v_mul_f32_dpp v4, v25, v50 row_newbcast:0 row_mask:0xf bank_mask:0xf// 00000000C1E4: 0A0864FA FF015019
	v_mfma_f32_16x16x32_fp8_fp8 v[8:11], a[144:145], a[104:105], 0// 00000000C1EC: D3F30008 1A02D190
	buffer_load_dword v41, v34, s[28:31], 0 offen              // 00000000C1F4: E0501000 80072922
	v_mfma_f32_16x16x32_fp8_fp8 v[8:11], a[146:147], a[106:107], v[8:11]// 00000000C1FC: D3F30008 1C22D592
	v_mfma_f32_16x16x32_fp8_fp8 v[8:11], a[148:149], a[108:109], v[8:11]// 00000000C204: D3F30008 1C22D994
	buffer_load_dword v42, v35, s[28:31], 0 offen              // 00000000C20C: E0501000 80072A23
	v_mfma_f32_16x16x32_fp8_fp8 v[8:11], a[150:151], a[110:111], v[8:11]// 00000000C214: D3F30008 1C22DD96
	v_fma_f32 v124, v12, v6, v124                              // 00000000C21C: D1CB007C 05F20D0C
	v_fma_f32 v125, v13, v6, v125                              // 00000000C224: D1CB007D 05F60D0D
	v_fma_f32 v126, v14, v6, v126                              // 00000000C22C: D1CB007E 05FA0D0E
	v_fma_f32 v127, v15, v6, v127                              // 00000000C234: D1CB007F 05FE0D0F
	v_mfma_f32_16x16x32_fp8_fp8 v[12:15], a[152:153], a[104:105], 0// 00000000C23C: D3F3000C 1A02D198
	buffer_load_dword v43, v36, s[28:31], 0 offen              // 00000000C244: E0501000 80072B24
	v_mfma_f32_16x16x32_fp8_fp8 v[12:15], a[154:155], a[106:107], v[12:15]// 00000000C24C: D3F3000C 1C32D59A
	v_mfma_f32_16x16x32_fp8_fp8 v[12:15], a[156:157], a[108:109], v[12:15]// 00000000C254: D3F3000C 1C32D99C
	v_mfma_f32_16x16x32_fp8_fp8 v[12:15], a[158:159], a[110:111], v[12:15]// 00000000C25C: D3F3000C 1C32DD9E
	v_fma_f32 v100, v8, v4, v100                               // 00000000C264: D1CB0064 05920908
	v_fma_f32 v101, v9, v4, v101                               // 00000000C26C: D1CB0065 05960909
	v_fma_f32 v102, v10, v4, v102                              // 00000000C274: D1CB0066 059A090A
	v_fma_f32 v103, v11, v4, v103                              // 00000000C27C: D1CB0067 059E090B
	v_fma_f32 v128, v12, v4, v128                              // 00000000C284: D1CB0080 0602090C
	v_fma_f32 v129, v13, v4, v129                              // 00000000C28C: D1CB0081 0606090D
	v_fma_f32 v130, v14, v4, v130                              // 00000000C294: D1CB0082 060A090E
	v_fma_f32 v131, v15, v4, v131                              // 00000000C29C: D1CB0083 060E090F
	s_waitcnt vmcnt(26)                                        // 00000000C2A4: BF8C4F7A
	s_barrier                                                  // 00000000C2A8: BF8A0000
	v_mul_f32_dpp v4, v28, v44 row_newbcast:0 row_mask:0xf bank_mask:0xf// 00000000C2AC: 0A0858FA FF01501C
	v_mfma_f32_16x16x32_fp8_fp8 v[8:11], a[112:113], a[56:57], 0// 00000000C2B4: D3F30008 1A027170
	buffer_load_dword v29, v23, s[32:35], 0 offen              // 00000000C2BC: E0501000 80081D17
	buffer_load_dwordx4 a[144:147], v72, s[84:87], 0 offen     // 00000000C2C4: E05C1000 80959048
	v_mfma_f32_16x16x32_fp8_fp8 v[8:11], a[114:115], a[58:59], v[8:11]// 00000000C2CC: D3F30008 1C227572
	v_mfma_f32_16x16x32_fp8_fp8 v[8:11], a[116:117], a[60:61], v[8:11]// 00000000C2D4: D3F30008 1C227974
	ds_read_b128 a[0:3], v2 offset:28928                       // 00000000C2DC: DBFE7100 00000002
	ds_read_b128 a[4:7], v2 offset:28992                       // 00000000C2E4: DBFE7140 04000002
	v_mfma_f32_16x16x32_fp8_fp8 v[8:11], a[118:119], a[62:63], v[8:11]// 00000000C2EC: D3F30008 1C227D76
	v_mfma_f32_16x16x32_fp8_fp8 v[12:15], a[120:121], a[56:57], 0// 00000000C2F4: D3F3000C 1A027178
	buffer_load_dwordx4 a[148:151], v72, s[84:87], 0 offen offset:1024// 00000000C2FC: E05C1400 80959448
	v_mfma_f32_16x16x32_fp8_fp8 v[12:15], a[122:123], a[58:59], v[12:15]// 00000000C304: D3F3000C 1C32757A
	v_mfma_f32_16x16x32_fp8_fp8 v[12:15], a[124:125], a[60:61], v[12:15]// 00000000C30C: D3F3000C 1C32797C
	ds_read_b128 a[8:11], v2 offset:29440                      // 00000000C314: DBFE7300 08000002
	ds_read_b128 a[12:15], v2 offset:29504                     // 00000000C31C: DBFE7340 0C000002
	v_mfma_f32_16x16x32_fp8_fp8 v[12:15], a[126:127], a[62:63], v[12:15]// 00000000C324: D3F3000C 1C327D7E
	v_fma_f32 v132, v8, v4, v132                               // 00000000C32C: D1CB0084 06120908
	v_fma_f32 v133, v9, v4, v133                               // 00000000C334: D1CB0085 06160909
	v_fma_f32 v134, v10, v4, v134                              // 00000000C33C: D1CB0086 061A090A
	v_fma_f32 v135, v11, v4, v135                              // 00000000C344: D1CB0087 061E090B
	v_mul_f32_dpp v6, v28, v45 row_newbcast:0 row_mask:0xf bank_mask:0xf// 00000000C34C: 0A0C5AFA FF01501C
	v_mfma_f32_16x16x32_fp8_fp8 v[8:11], a[112:113], a[64:65], 0// 00000000C354: D3F30008 1A028170
	buffer_load_dwordx4 a[152:155], v73, s[84:87], 0 offen     // 00000000C35C: E05C1000 80959849
	v_mfma_f32_16x16x32_fp8_fp8 v[8:11], a[114:115], a[66:67], v[8:11]// 00000000C364: D3F30008 1C228572
	v_mfma_f32_16x16x32_fp8_fp8 v[8:11], a[116:117], a[68:69], v[8:11]// 00000000C36C: D3F30008 1C228974
	ds_read_b128 a[16:19], v2 offset:29952                     // 00000000C374: DBFE7500 10000002
	ds_read_b128 a[20:23], v2 offset:30016                     // 00000000C37C: DBFE7540 14000002
	v_mfma_f32_16x16x32_fp8_fp8 v[8:11], a[118:119], a[70:71], v[8:11]// 00000000C384: D3F30008 1C228D76
	v_fma_f32 v160, v12, v4, v160                              // 00000000C38C: D1CB00A0 0682090C
	v_fma_f32 v161, v13, v4, v161                              // 00000000C394: D1CB00A1 0686090D
	v_fma_f32 v162, v14, v4, v162                              // 00000000C39C: D1CB00A2 068A090E
	v_fma_f32 v163, v15, v4, v163                              // 00000000C3A4: D1CB00A3 068E090F
	v_mfma_f32_16x16x32_fp8_fp8 v[12:15], a[120:121], a[64:65], 0// 00000000C3AC: D3F3000C 1A028178
	buffer_load_dwordx4 a[156:159], v73, s[84:87], 0 offen offset:1024// 00000000C3B4: E05C1400 80959C49
	v_mfma_f32_16x16x32_fp8_fp8 v[12:15], a[122:123], a[66:67], v[12:15]// 00000000C3BC: D3F3000C 1C32857A
	v_mfma_f32_16x16x32_fp8_fp8 v[12:15], a[124:125], a[68:69], v[12:15]// 00000000C3C4: D3F3000C 1C32897C
	ds_read_b128 a[24:27], v2 offset:30464                     // 00000000C3CC: DBFE7700 18000002
	ds_read_b128 a[28:31], v2 offset:30528                     // 00000000C3D4: DBFE7740 1C000002
	v_mfma_f32_16x16x32_fp8_fp8 v[12:15], a[126:127], a[70:71], v[12:15]// 00000000C3DC: D3F3000C 1C328D7E
	v_fma_f32 v136, v8, v6, v136                               // 00000000C3E4: D1CB0088 06220D08
	v_fma_f32 v137, v9, v6, v137                               // 00000000C3EC: D1CB0089 06260D09
	v_fma_f32 v138, v10, v6, v138                              // 00000000C3F4: D1CB008A 062A0D0A
	v_fma_f32 v139, v11, v6, v139                              // 00000000C3FC: D1CB008B 062E0D0B
	v_mul_f32_dpp v4, v28, v46 row_newbcast:0 row_mask:0xf bank_mask:0xf// 00000000C404: 0A085CFA FF01501C
	v_mfma_f32_16x16x32_fp8_fp8 v[8:11], a[112:113], a[72:73], 0// 00000000C40C: D3F30008 1A029170
	v_mfma_f32_16x16x32_fp8_fp8 v[8:11], a[114:115], a[74:75], v[8:11]// 00000000C414: D3F30008 1C229572
	v_mfma_f32_16x16x32_fp8_fp8 v[8:11], a[116:117], a[76:77], v[8:11]// 00000000C41C: D3F30008 1C229974
	ds_read_b128 a[32:35], v2 offset:30976                     // 00000000C424: DBFE7900 20000002
	ds_read_b128 a[36:39], v2 offset:31040                     // 00000000C42C: DBFE7940 24000002
	v_mfma_f32_16x16x32_fp8_fp8 v[8:11], a[118:119], a[78:79], v[8:11]// 00000000C434: D3F30008 1C229D76
	v_fma_f32 v164, v12, v6, v164                              // 00000000C43C: D1CB00A4 06920D0C
	v_fma_f32 v165, v13, v6, v165                              // 00000000C444: D1CB00A5 06960D0D
	v_fma_f32 v166, v14, v6, v166                              // 00000000C44C: D1CB00A6 069A0D0E
	v_fma_f32 v167, v15, v6, v167                              // 00000000C454: D1CB00A7 069E0D0F
	v_mfma_f32_16x16x32_fp8_fp8 v[12:15], a[120:121], a[72:73], 0// 00000000C45C: D3F3000C 1A029178
	v_mfma_f32_16x16x32_fp8_fp8 v[12:15], a[122:123], a[74:75], v[12:15]// 00000000C464: D3F3000C 1C32957A
	v_mfma_f32_16x16x32_fp8_fp8 v[12:15], a[124:125], a[76:77], v[12:15]// 00000000C46C: D3F3000C 1C32997C
	ds_read_b128 a[40:43], v2 offset:31488                     // 00000000C474: DBFE7B00 28000002
	ds_read_b128 a[44:47], v2 offset:31552                     // 00000000C47C: DBFE7B40 2C000002
	v_mfma_f32_16x16x32_fp8_fp8 v[12:15], a[126:127], a[78:79], v[12:15]// 00000000C484: D3F3000C 1C329D7E
	v_fma_f32 v140, v8, v4, v140                               // 00000000C48C: D1CB008C 06320908
	v_fma_f32 v141, v9, v4, v141                               // 00000000C494: D1CB008D 06360909
	v_fma_f32 v142, v10, v4, v142                              // 00000000C49C: D1CB008E 063A090A
	v_fma_f32 v143, v11, v4, v143                              // 00000000C4A4: D1CB008F 063E090B
	v_mul_f32_dpp v6, v28, v47 row_newbcast:0 row_mask:0xf bank_mask:0xf// 00000000C4AC: 0A0C5EFA FF01501C
	v_mfma_f32_16x16x32_fp8_fp8 v[8:11], a[112:113], a[80:81], 0// 00000000C4B4: D3F30008 1A02A170
	v_mfma_f32_16x16x32_fp8_fp8 v[8:11], a[114:115], a[82:83], v[8:11]// 00000000C4BC: D3F30008 1C22A572
	v_mfma_f32_16x16x32_fp8_fp8 v[8:11], a[116:117], a[84:85], v[8:11]// 00000000C4C4: D3F30008 1C22A974
	ds_read_b128 a[48:51], v2 offset:32000                     // 00000000C4CC: DBFE7D00 30000002
	ds_read_b128 a[52:55], v2 offset:32064                     // 00000000C4D4: DBFE7D40 34000002
	v_mfma_f32_16x16x32_fp8_fp8 v[8:11], a[118:119], a[86:87], v[8:11]// 00000000C4DC: D3F30008 1C22AD76
	v_fma_f32 v168, v12, v4, v168                              // 00000000C4E4: D1CB00A8 06A2090C
	v_fma_f32 v169, v13, v4, v169                              // 00000000C4EC: D1CB00A9 06A6090D
	v_fma_f32 v170, v14, v4, v170                              // 00000000C4F4: D1CB00AA 06AA090E
	v_fma_f32 v171, v15, v4, v171                              // 00000000C4FC: D1CB00AB 06AE090F
	v_mfma_f32_16x16x32_fp8_fp8 v[12:15], a[120:121], a[80:81], 0// 00000000C504: D3F3000C 1A02A178
	v_mfma_f32_16x16x32_fp8_fp8 v[12:15], a[122:123], a[82:83], v[12:15]// 00000000C50C: D3F3000C 1C32A57A
	v_mfma_f32_16x16x32_fp8_fp8 v[12:15], a[124:125], a[84:85], v[12:15]// 00000000C514: D3F3000C 1C32A97C
	v_mfma_f32_16x16x32_fp8_fp8 v[12:15], a[126:127], a[86:87], v[12:15]// 00000000C51C: D3F3000C 1C32AD7E
	v_fma_f32 v144, v8, v6, v144                               // 00000000C524: D1CB0090 06420D08
	v_fma_f32 v145, v9, v6, v145                               // 00000000C52C: D1CB0091 06460D09
	v_fma_f32 v146, v10, v6, v146                              // 00000000C534: D1CB0092 064A0D0A
	v_fma_f32 v147, v11, v6, v147                              // 00000000C53C: D1CB0093 064E0D0B
	v_mul_f32_dpp v4, v28, v48 row_newbcast:0 row_mask:0xf bank_mask:0xf// 00000000C544: 0A0860FA FF01501C
	v_mfma_f32_16x16x32_fp8_fp8 v[8:11], a[112:113], a[88:89], 0// 00000000C54C: D3F30008 1A02B170
	v_mfma_f32_16x16x32_fp8_fp8 v[8:11], a[114:115], a[90:91], v[8:11]// 00000000C554: D3F30008 1C22B572
	v_mfma_f32_16x16x32_fp8_fp8 v[8:11], a[116:117], a[92:93], v[8:11]// 00000000C55C: D3F30008 1C22B974
	v_mfma_f32_16x16x32_fp8_fp8 v[8:11], a[118:119], a[94:95], v[8:11]// 00000000C564: D3F30008 1C22BD76
	v_fma_f32 v172, v12, v6, v172                              // 00000000C56C: D1CB00AC 06B20D0C
	v_fma_f32 v173, v13, v6, v173                              // 00000000C574: D1CB00AD 06B60D0D
	v_fma_f32 v174, v14, v6, v174                              // 00000000C57C: D1CB00AE 06BA0D0E
	v_fma_f32 v175, v15, v6, v175                              // 00000000C584: D1CB00AF 06BE0D0F
	v_mfma_f32_16x16x32_fp8_fp8 v[12:15], a[120:121], a[88:89], 0// 00000000C58C: D3F3000C 1A02B178
	v_mfma_f32_16x16x32_fp8_fp8 v[12:15], a[122:123], a[90:91], v[12:15]// 00000000C594: D3F3000C 1C32B57A
	v_mfma_f32_16x16x32_fp8_fp8 v[12:15], a[124:125], a[92:93], v[12:15]// 00000000C59C: D3F3000C 1C32B97C
	v_mfma_f32_16x16x32_fp8_fp8 v[12:15], a[126:127], a[94:95], v[12:15]// 00000000C5A4: D3F3000C 1C32BD7E
	v_fma_f32 v148, v8, v4, v148                               // 00000000C5AC: D1CB0094 06520908
	v_fma_f32 v149, v9, v4, v149                               // 00000000C5B4: D1CB0095 06560909
	v_fma_f32 v150, v10, v4, v150                              // 00000000C5BC: D1CB0096 065A090A
	v_fma_f32 v151, v11, v4, v151                              // 00000000C5C4: D1CB0097 065E090B
	v_mul_f32_dpp v6, v28, v49 row_newbcast:0 row_mask:0xf bank_mask:0xf// 00000000C5CC: 0A0C62FA FF01501C
	v_mfma_f32_16x16x32_fp8_fp8 v[8:11], a[112:113], a[96:97], 0// 00000000C5D4: D3F30008 1A02C170
	v_mfma_f32_16x16x32_fp8_fp8 v[8:11], a[114:115], a[98:99], v[8:11]// 00000000C5DC: D3F30008 1C22C572
	v_mfma_f32_16x16x32_fp8_fp8 v[8:11], a[116:117], a[100:101], v[8:11]// 00000000C5E4: D3F30008 1C22C974
	v_mfma_f32_16x16x32_fp8_fp8 v[8:11], a[118:119], a[102:103], v[8:11]// 00000000C5EC: D3F30008 1C22CD76
	v_fma_f32 v176, v12, v4, v176                              // 00000000C5F4: D1CB00B0 06C2090C
	v_fma_f32 v177, v13, v4, v177                              // 00000000C5FC: D1CB00B1 06C6090D
	v_fma_f32 v178, v14, v4, v178                              // 00000000C604: D1CB00B2 06CA090E
	v_fma_f32 v179, v15, v4, v179                              // 00000000C60C: D1CB00B3 06CE090F
	v_mfma_f32_16x16x32_fp8_fp8 v[12:15], a[120:121], a[96:97], 0// 00000000C614: D3F3000C 1A02C178
	v_mfma_f32_16x16x32_fp8_fp8 v[12:15], a[122:123], a[98:99], v[12:15]// 00000000C61C: D3F3000C 1C32C57A
	v_mfma_f32_16x16x32_fp8_fp8 v[12:15], a[124:125], a[100:101], v[12:15]// 00000000C624: D3F3000C 1C32C97C
	v_mfma_f32_16x16x32_fp8_fp8 v[12:15], a[126:127], a[102:103], v[12:15]// 00000000C62C: D3F3000C 1C32CD7E
	v_fma_f32 v152, v8, v6, v152                               // 00000000C634: D1CB0098 06620D08
	v_fma_f32 v153, v9, v6, v153                               // 00000000C63C: D1CB0099 06660D09
	v_fma_f32 v154, v10, v6, v154                              // 00000000C644: D1CB009A 066A0D0A
	v_fma_f32 v155, v11, v6, v155                              // 00000000C64C: D1CB009B 066E0D0B
	v_mul_f32_dpp v4, v28, v50 row_newbcast:0 row_mask:0xf bank_mask:0xf// 00000000C654: 0A0864FA FF01501C
	v_mfma_f32_16x16x32_fp8_fp8 v[8:11], a[112:113], a[104:105], 0// 00000000C65C: D3F30008 1A02D170
	s_add_u32 s60, 0x180, s80                                  // 00000000C664: 803C50FF 00000180
	s_cmp_lt_u32 s60, s81                                      // 00000000C66C: BF0A513C
	s_cselect_b32 s57, s57, 0                                  // 00000000C670: 85398039
	s_cselect_b32 s3, s3, 0                                    // 00000000C674: 85038003
	v_mfma_f32_16x16x32_fp8_fp8 v[8:11], a[114:115], a[106:107], v[8:11]// 00000000C678: D3F30008 1C22D572
	s_add_u32 s60, 0x100, s80                                  // 00000000C680: 803C50FF 00000100
	s_cmp_lt_u32 s60, s81                                      // 00000000C688: BF0A513C
	s_cselect_b32 s58, s58, 0                                  // 00000000C68C: 853A803A
	v_mfma_f32_16x16x32_fp8_fp8 v[8:11], a[116:117], a[108:109], v[8:11]// 00000000C690: D3F30008 1C22D974
	s_add_u32 s60, 0x100, s80                                  // 00000000C698: 803C50FF 00000100
	s_cmp_lt_u32 s60, s81                                      // 00000000C6A0: BF0A513C
	s_cselect_b32 s83, s83, 0                                  // 00000000C6A4: 85538053
	s_cselect_b32 s4, s4, 0                                    // 00000000C6A8: 85048004
	v_mfma_f32_16x16x32_fp8_fp8 v[8:11], a[118:119], a[110:111], v[8:11]// 00000000C6AC: D3F30008 1C22DD76
	s_add_u32 s24, s58, s24                                    // 00000000C6B4: 8018183A
	s_addc_u32 s25, 0, s25                                     // 00000000C6B8: 82191980
	v_fma_f32 v180, v12, v6, v180                              // 00000000C6BC: D1CB00B4 06D20D0C
	v_fma_f32 v181, v13, v6, v181                              // 00000000C6C4: D1CB00B5 06D60D0D
	v_fma_f32 v182, v14, v6, v182                              // 00000000C6CC: D1CB00B6 06DA0D0E
	v_fma_f32 v183, v15, v6, v183                              // 00000000C6D4: D1CB00B7 06DE0D0F
	v_mfma_f32_16x16x32_fp8_fp8 v[12:15], a[120:121], a[104:105], 0// 00000000C6DC: D3F3000C 1A02D178
	s_add_u32 s20, s57, s20                                    // 00000000C6E4: 80141439
	s_addc_u32 s21, 0, s21                                     // 00000000C6E8: 82151580
	s_add_u32 s28, s3, s28                                     // 00000000C6EC: 801C1C03
	s_addc_u32 s29, 0, s29                                     // 00000000C6F0: 821D1D80
	v_mfma_f32_16x16x32_fp8_fp8 v[12:15], a[122:123], a[106:107], v[12:15]// 00000000C6F4: D3F3000C 1C32D57A
	s_add_u32 s84, s83, s84                                    // 00000000C6FC: 80545453
	s_addc_u32 s85, 0, s85                                     // 00000000C700: 82555580
	v_mfma_f32_16x16x32_fp8_fp8 v[12:15], a[124:125], a[108:109], v[12:15]// 00000000C704: D3F3000C 1C32D97C
	s_add_u32 s32, s4, s32                                     // 00000000C70C: 80202004
	s_addc_u32 s33, 0, s33                                     // 00000000C710: 82212180
	v_mfma_f32_16x16x32_fp8_fp8 v[12:15], a[126:127], a[110:111], v[12:15]// 00000000C714: D3F3000C 1C32DD7E
	v_fma_f32 v156, v8, v4, v156                               // 00000000C71C: D1CB009C 06720908
	v_fma_f32 v157, v9, v4, v157                               // 00000000C724: D1CB009D 06760909
	v_fma_f32 v158, v10, v4, v158                              // 00000000C72C: D1CB009E 067A090A
	v_fma_f32 v159, v11, v4, v159                              // 00000000C734: D1CB009F 067E090B
	v_fma_f32 v184, v12, v4, v184                              // 00000000C73C: D1CB00B8 06E2090C
	v_fma_f32 v185, v13, v4, v185                              // 00000000C744: D1CB00B9 06E6090D
	v_fma_f32 v186, v14, v4, v186                              // 00000000C74C: D1CB00BA 06EA090E
	v_fma_f32 v187, v15, v4, v187                              // 00000000C754: D1CB00BB 06EE090F
	s_addk_i32 s80, 0x80                                       // 00000000C75C: B7500080
	s_cmp_lt_i32 s80, s81                                      // 00000000C760: BF045150
	s_cbranch_scc0 label_311A                                  // 00000000C764: BF8409BD
	s_waitcnt vmcnt(26) lgkmcnt(0)                             // 00000000C768: BF8C407A
	v_mul_f32_dpp v4, v26, v51 row_newbcast:0 row_mask:0xf bank_mask:0xf// 00000000C76C: 0A0866FA FF01501A
	v_mfma_f32_16x16x32_fp8_fp8 v[8:11], a[128:129], a[0:1], 0 // 00000000C774: D3F30008 1A020180
	buffer_load_dword v24, v22, s[32:35], 0 offen              // 00000000C77C: E0501000 80081816
	buffer_load_dwordx4 a[112:115], v72, s[24:27], 0 offen     // 00000000C784: E05C1000 80867048
	v_mfma_f32_16x16x32_fp8_fp8 v[8:11], a[130:131], a[2:3], v[8:11]// 00000000C78C: D3F30008 1C220582
	v_mfma_f32_16x16x32_fp8_fp8 v[8:11], a[132:133], a[4:5], v[8:11]// 00000000C794: D3F30008 1C220984
	v_mfma_f32_16x16x32_fp8_fp8 v[8:11], a[134:135], a[6:7], v[8:11]// 00000000C79C: D3F30008 1C220D86
	v_mfma_f32_16x16x32_fp8_fp8 v[12:15], a[136:137], a[0:1], 0// 00000000C7A4: D3F3000C 1A020188
	buffer_load_dwordx4 a[116:119], v72, s[24:27], 0 offen offset:1024// 00000000C7AC: E05C1400 80867448
	v_mfma_f32_16x16x32_fp8_fp8 v[12:15], a[138:139], a[2:3], v[12:15]// 00000000C7B4: D3F3000C 1C32058A
	v_mfma_f32_16x16x32_fp8_fp8 v[12:15], a[140:141], a[4:5], v[12:15]// 00000000C7BC: D3F3000C 1C32098C
	v_mfma_f32_16x16x32_fp8_fp8 v[12:15], a[142:143], a[6:7], v[12:15]// 00000000C7C4: D3F3000C 1C320D8E
	v_fma_f32 v76, v8, v4, v76                                 // 00000000C7CC: D1CB004C 05320908
	v_fma_f32 v77, v9, v4, v77                                 // 00000000C7D4: D1CB004D 05360909
	v_fma_f32 v78, v10, v4, v78                                // 00000000C7DC: D1CB004E 053A090A
	v_fma_f32 v79, v11, v4, v79                                // 00000000C7E4: D1CB004F 053E090B
	v_mul_f32_dpp v6, v26, v52 row_newbcast:0 row_mask:0xf bank_mask:0xf// 00000000C7EC: 0A0C68FA FF01501A
	v_mfma_f32_16x16x32_fp8_fp8 v[8:11], a[128:129], a[8:9], 0 // 00000000C7F4: D3F30008 1A021180
	buffer_load_dwordx4 a[120:123], v73, s[24:27], 0 offen     // 00000000C7FC: E05C1000 80867849
	v_mfma_f32_16x16x32_fp8_fp8 v[8:11], a[130:131], a[10:11], v[8:11]// 00000000C804: D3F30008 1C221582
	v_mfma_f32_16x16x32_fp8_fp8 v[8:11], a[132:133], a[12:13], v[8:11]// 00000000C80C: D3F30008 1C221984
	v_mfma_f32_16x16x32_fp8_fp8 v[8:11], a[134:135], a[14:15], v[8:11]// 00000000C814: D3F30008 1C221D86
	v_fma_f32 v104, v12, v4, v104                              // 00000000C81C: D1CB0068 05A2090C
	v_fma_f32 v105, v13, v4, v105                              // 00000000C824: D1CB0069 05A6090D
	v_fma_f32 v106, v14, v4, v106                              // 00000000C82C: D1CB006A 05AA090E
	v_fma_f32 v107, v15, v4, v107                              // 00000000C834: D1CB006B 05AE090F
	v_mfma_f32_16x16x32_fp8_fp8 v[12:15], a[136:137], a[8:9], 0// 00000000C83C: D3F3000C 1A021188
	buffer_load_dwordx4 a[124:127], v73, s[24:27], 0 offen offset:1024// 00000000C844: E05C1400 80867C49
	buffer_load_dword v58, s[20:23], 0 offen lds               // 00000000C84C: E0511000 8005003A
	s_add_u32 m0, 0x100, s49                                   // 00000000C854: 807C31FF 00000100
	v_mfma_f32_16x16x32_fp8_fp8 v[12:15], a[138:139], a[10:11], v[12:15]// 00000000C85C: D3F3000C 1C32158A
	v_mfma_f32_16x16x32_fp8_fp8 v[12:15], a[140:141], a[12:13], v[12:15]// 00000000C864: D3F3000C 1C32198C
	buffer_load_dword v59, s[20:23], 0 offen lds               // 00000000C86C: E0511000 8005003B
	s_add_u32 m0, 0x200, s49                                   // 00000000C874: 807C31FF 00000200
	v_mfma_f32_16x16x32_fp8_fp8 v[12:15], a[142:143], a[14:15], v[12:15]// 00000000C87C: D3F3000C 1C321D8E
	v_fma_f32 v80, v8, v6, v80                                 // 00000000C884: D1CB0050 05420D08
	v_fma_f32 v81, v9, v6, v81                                 // 00000000C88C: D1CB0051 05460D09
	v_fma_f32 v82, v10, v6, v82                                // 00000000C894: D1CB0052 054A0D0A
	v_fma_f32 v83, v11, v6, v83                                // 00000000C89C: D1CB0053 054E0D0B
	v_mul_f32_dpp v4, v26, v53 row_newbcast:0 row_mask:0xf bank_mask:0xf// 00000000C8A4: 0A086AFA FF01501A
	v_mfma_f32_16x16x32_fp8_fp8 v[8:11], a[128:129], a[16:17], 0// 00000000C8AC: D3F30008 1A022180
	buffer_load_dword v60, s[20:23], 0 offen lds               // 00000000C8B4: E0511000 8005003C
	s_add_u32 m0, 0x300, s49                                   // 00000000C8BC: 807C31FF 00000300
	v_mfma_f32_16x16x32_fp8_fp8 v[8:11], a[130:131], a[18:19], v[8:11]// 00000000C8C4: D3F30008 1C222582
	v_mfma_f32_16x16x32_fp8_fp8 v[8:11], a[132:133], a[20:21], v[8:11]// 00000000C8CC: D3F30008 1C222984
	buffer_load_dword v61, s[20:23], 0 offen lds               // 00000000C8D4: E0511000 8005003D
	s_add_u32 m0, 0x400, s49                                   // 00000000C8DC: 807C31FF 00000400
	v_mfma_f32_16x16x32_fp8_fp8 v[8:11], a[134:135], a[22:23], v[8:11]// 00000000C8E4: D3F30008 1C222D86
	v_fma_f32 v108, v12, v6, v108                              // 00000000C8EC: D1CB006C 05B20D0C
	v_fma_f32 v109, v13, v6, v109                              // 00000000C8F4: D1CB006D 05B60D0D
	v_fma_f32 v110, v14, v6, v110                              // 00000000C8FC: D1CB006E 05BA0D0E
	v_fma_f32 v111, v15, v6, v111                              // 00000000C904: D1CB006F 05BE0D0F
	v_mfma_f32_16x16x32_fp8_fp8 v[12:15], a[136:137], a[16:17], 0// 00000000C90C: D3F3000C 1A022188
	buffer_load_dword v62, s[20:23], 0 offen lds               // 00000000C914: E0511000 8005003E
	s_add_u32 m0, 0x500, s49                                   // 00000000C91C: 807C31FF 00000500
	v_mfma_f32_16x16x32_fp8_fp8 v[12:15], a[138:139], a[18:19], v[12:15]// 00000000C924: D3F3000C 1C32258A
	v_mfma_f32_16x16x32_fp8_fp8 v[12:15], a[140:141], a[20:21], v[12:15]// 00000000C92C: D3F3000C 1C32298C
	buffer_load_dword v63, s[20:23], 0 offen lds               // 00000000C934: E0511000 8005003F
	s_add_u32 m0, 0x600, s49                                   // 00000000C93C: 807C31FF 00000600
	v_mfma_f32_16x16x32_fp8_fp8 v[12:15], a[142:143], a[22:23], v[12:15]// 00000000C944: D3F3000C 1C322D8E
	v_fma_f32 v84, v8, v4, v84                                 // 00000000C94C: D1CB0054 05520908
	v_fma_f32 v85, v9, v4, v85                                 // 00000000C954: D1CB0055 05560909
	v_fma_f32 v86, v10, v4, v86                                // 00000000C95C: D1CB0056 055A090A
	v_fma_f32 v87, v11, v4, v87                                // 00000000C964: D1CB0057 055E090B
	v_mul_f32_dpp v6, v26, v54 row_newbcast:0 row_mask:0xf bank_mask:0xf// 00000000C96C: 0A0C6CFA FF01501A
	v_mfma_f32_16x16x32_fp8_fp8 v[8:11], a[128:129], a[24:25], 0// 00000000C974: D3F30008 1A023180
	buffer_load_dword v64, s[20:23], 0 offen lds               // 00000000C97C: E0511000 80050040
	s_add_u32 m0, 0x700, s49                                   // 00000000C984: 807C31FF 00000700
	v_mfma_f32_16x16x32_fp8_fp8 v[8:11], a[130:131], a[26:27], v[8:11]// 00000000C98C: D3F30008 1C223582
	v_mfma_f32_16x16x32_fp8_fp8 v[8:11], a[132:133], a[28:29], v[8:11]// 00000000C994: D3F30008 1C223984
	buffer_load_dword v65, s[20:23], 0 offen lds               // 00000000C99C: E0511000 80050041
	s_add_u32 m0, 0x800, s49                                   // 00000000C9A4: 807C31FF 00000800
	v_mfma_f32_16x16x32_fp8_fp8 v[8:11], a[134:135], a[30:31], v[8:11]// 00000000C9AC: D3F30008 1C223D86
	v_fma_f32 v112, v12, v4, v112                              // 00000000C9B4: D1CB0070 05C2090C
	v_fma_f32 v113, v13, v4, v113                              // 00000000C9BC: D1CB0071 05C6090D
	v_fma_f32 v114, v14, v4, v114                              // 00000000C9C4: D1CB0072 05CA090E
	v_fma_f32 v115, v15, v4, v115                              // 00000000C9CC: D1CB0073 05CE090F
	v_mfma_f32_16x16x32_fp8_fp8 v[12:15], a[136:137], a[24:25], 0// 00000000C9D4: D3F3000C 1A023188
	buffer_load_dword v66, s[20:23], 0 offen lds               // 00000000C9DC: E0511000 80050042
	s_add_u32 m0, 0x900, s49                                   // 00000000C9E4: 807C31FF 00000900
	v_mfma_f32_16x16x32_fp8_fp8 v[12:15], a[138:139], a[26:27], v[12:15]// 00000000C9EC: D3F3000C 1C32358A
	v_mfma_f32_16x16x32_fp8_fp8 v[12:15], a[140:141], a[28:29], v[12:15]// 00000000C9F4: D3F3000C 1C32398C
	buffer_load_dword v67, s[20:23], 0 offen lds               // 00000000C9FC: E0511000 80050043
	s_add_u32 m0, 0xa00, s49                                   // 00000000CA04: 807C31FF 00000A00
	v_mfma_f32_16x16x32_fp8_fp8 v[12:15], a[142:143], a[30:31], v[12:15]// 00000000CA0C: D3F3000C 1C323D8E
	v_fma_f32 v88, v8, v6, v88                                 // 00000000CA14: D1CB0058 05620D08
	v_fma_f32 v89, v9, v6, v89                                 // 00000000CA1C: D1CB0059 05660D09
	v_fma_f32 v90, v10, v6, v90                                // 00000000CA24: D1CB005A 056A0D0A
	v_fma_f32 v91, v11, v6, v91                                // 00000000CA2C: D1CB005B 056E0D0B
	v_mul_f32_dpp v4, v26, v55 row_newbcast:0 row_mask:0xf bank_mask:0xf// 00000000CA34: 0A086EFA FF01501A
	v_mfma_f32_16x16x32_fp8_fp8 v[8:11], a[128:129], a[32:33], 0// 00000000CA3C: D3F30008 1A024180
	buffer_load_dword v68, s[20:23], 0 offen lds               // 00000000CA44: E0511000 80050044
	s_add_u32 m0, 0xb00, s49                                   // 00000000CA4C: 807C31FF 00000B00
	v_mfma_f32_16x16x32_fp8_fp8 v[8:11], a[130:131], a[34:35], v[8:11]// 00000000CA54: D3F30008 1C224582
	v_mfma_f32_16x16x32_fp8_fp8 v[8:11], a[132:133], a[36:37], v[8:11]// 00000000CA5C: D3F30008 1C224984
	buffer_load_dword v69, s[20:23], 0 offen lds               // 00000000CA64: E0511000 80050045
	s_add_u32 m0, 0xc00, s49                                   // 00000000CA6C: 807C31FF 00000C00
	v_mfma_f32_16x16x32_fp8_fp8 v[8:11], a[134:135], a[38:39], v[8:11]// 00000000CA74: D3F30008 1C224D86
	v_fma_f32 v116, v12, v6, v116                              // 00000000CA7C: D1CB0074 05D20D0C
	v_fma_f32 v117, v13, v6, v117                              // 00000000CA84: D1CB0075 05D60D0D
	v_fma_f32 v118, v14, v6, v118                              // 00000000CA8C: D1CB0076 05DA0D0E
	v_fma_f32 v119, v15, v6, v119                              // 00000000CA94: D1CB0077 05DE0D0F
	v_mfma_f32_16x16x32_fp8_fp8 v[12:15], a[136:137], a[32:33], 0// 00000000CA9C: D3F3000C 1A024188
	buffer_load_dword v70, s[20:23], 0 offen lds               // 00000000CAA4: E0511000 80050046
	s_add_u32 m0, 0xd00, s49                                   // 00000000CAAC: 807C31FF 00000D00
	v_mfma_f32_16x16x32_fp8_fp8 v[12:15], a[138:139], a[34:35], v[12:15]// 00000000CAB4: D3F3000C 1C32458A
	v_mfma_f32_16x16x32_fp8_fp8 v[12:15], a[140:141], a[36:37], v[12:15]// 00000000CABC: D3F3000C 1C32498C
	buffer_load_dword v71, s[20:23], 0 offen lds               // 00000000CAC4: E0511000 80050047
	s_add_u32 m0, 0, s50                                       // 00000000CACC: 807C3280
	v_mfma_f32_16x16x32_fp8_fp8 v[12:15], a[142:143], a[38:39], v[12:15]// 00000000CAD0: D3F3000C 1C324D8E
	v_fma_f32 v92, v8, v4, v92                                 // 00000000CAD8: D1CB005C 05720908
	v_fma_f32 v93, v9, v4, v93                                 // 00000000CAE0: D1CB005D 05760909
	v_fma_f32 v94, v10, v4, v94                                // 00000000CAE8: D1CB005E 057A090A
	v_fma_f32 v95, v11, v4, v95                                // 00000000CAF0: D1CB005F 057E090B
	v_mul_f32_dpp v6, v26, v56 row_newbcast:0 row_mask:0xf bank_mask:0xf// 00000000CAF8: 0A0C70FA FF01501A
	v_mfma_f32_16x16x32_fp8_fp8 v[8:11], a[128:129], a[40:41], 0// 00000000CB00: D3F30008 1A025180
	buffer_load_dword v44, v30, s[28:31], 0 offen              // 00000000CB08: E0501000 80072C1E
	v_mfma_f32_16x16x32_fp8_fp8 v[8:11], a[130:131], a[42:43], v[8:11]// 00000000CB10: D3F30008 1C225582
	v_mfma_f32_16x16x32_fp8_fp8 v[8:11], a[132:133], a[44:45], v[8:11]// 00000000CB18: D3F30008 1C225984
	buffer_load_dword v45, v31, s[28:31], 0 offen              // 00000000CB20: E0501000 80072D1F
	v_mfma_f32_16x16x32_fp8_fp8 v[8:11], a[134:135], a[46:47], v[8:11]// 00000000CB28: D3F30008 1C225D86
	v_fma_f32 v120, v12, v4, v120                              // 00000000CB30: D1CB0078 05E2090C
	v_fma_f32 v121, v13, v4, v121                              // 00000000CB38: D1CB0079 05E6090D
	v_fma_f32 v122, v14, v4, v122                              // 00000000CB40: D1CB007A 05EA090E
	v_fma_f32 v123, v15, v4, v123                              // 00000000CB48: D1CB007B 05EE090F
	v_mfma_f32_16x16x32_fp8_fp8 v[12:15], a[136:137], a[40:41], 0// 00000000CB50: D3F3000C 1A025188
	buffer_load_dword v46, v32, s[28:31], 0 offen              // 00000000CB58: E0501000 80072E20
	v_mfma_f32_16x16x32_fp8_fp8 v[12:15], a[138:139], a[42:43], v[12:15]// 00000000CB60: D3F3000C 1C32558A
	v_mfma_f32_16x16x32_fp8_fp8 v[12:15], a[140:141], a[44:45], v[12:15]// 00000000CB68: D3F3000C 1C32598C
	buffer_load_dword v47, v33, s[28:31], 0 offen              // 00000000CB70: E0501000 80072F21
	v_mfma_f32_16x16x32_fp8_fp8 v[12:15], a[142:143], a[46:47], v[12:15]// 00000000CB78: D3F3000C 1C325D8E
	v_fma_f32 v96, v8, v6, v96                                 // 00000000CB80: D1CB0060 05820D08
	v_fma_f32 v97, v9, v6, v97                                 // 00000000CB88: D1CB0061 05860D09
	v_fma_f32 v98, v10, v6, v98                                // 00000000CB90: D1CB0062 058A0D0A
	v_fma_f32 v99, v11, v6, v99                                // 00000000CB98: D1CB0063 058E0D0B
	v_mul_f32_dpp v4, v26, v57 row_newbcast:0 row_mask:0xf bank_mask:0xf// 00000000CBA0: 0A0872FA FF01501A
	v_mfma_f32_16x16x32_fp8_fp8 v[8:11], a[128:129], a[48:49], 0// 00000000CBA8: D3F30008 1A026180
	buffer_load_dword v48, v34, s[28:31], 0 offen              // 00000000CBB0: E0501000 80073022
	v_mfma_f32_16x16x32_fp8_fp8 v[8:11], a[130:131], a[50:51], v[8:11]// 00000000CBB8: D3F30008 1C226582
	v_mfma_f32_16x16x32_fp8_fp8 v[8:11], a[132:133], a[52:53], v[8:11]// 00000000CBC0: D3F30008 1C226984
	buffer_load_dword v49, v35, s[28:31], 0 offen              // 00000000CBC8: E0501000 80073123
	v_mfma_f32_16x16x32_fp8_fp8 v[8:11], a[134:135], a[54:55], v[8:11]// 00000000CBD0: D3F30008 1C226D86
	v_fma_f32 v124, v12, v6, v124                              // 00000000CBD8: D1CB007C 05F20D0C
	v_fma_f32 v125, v13, v6, v125                              // 00000000CBE0: D1CB007D 05F60D0D
	v_fma_f32 v126, v14, v6, v126                              // 00000000CBE8: D1CB007E 05FA0D0E
	v_fma_f32 v127, v15, v6, v127                              // 00000000CBF0: D1CB007F 05FE0D0F
	v_mfma_f32_16x16x32_fp8_fp8 v[12:15], a[136:137], a[48:49], 0// 00000000CBF8: D3F3000C 1A026188
	buffer_load_dword v50, v36, s[28:31], 0 offen              // 00000000CC00: E0501000 80073224
	v_mfma_f32_16x16x32_fp8_fp8 v[12:15], a[138:139], a[50:51], v[12:15]// 00000000CC08: D3F3000C 1C32658A
	v_mfma_f32_16x16x32_fp8_fp8 v[12:15], a[140:141], a[52:53], v[12:15]// 00000000CC10: D3F3000C 1C32698C
	v_mfma_f32_16x16x32_fp8_fp8 v[12:15], a[142:143], a[54:55], v[12:15]// 00000000CC18: D3F3000C 1C326D8E
	v_fma_f32 v100, v8, v4, v100                               // 00000000CC20: D1CB0064 05920908
	v_fma_f32 v101, v9, v4, v101                               // 00000000CC28: D1CB0065 05960909
	v_fma_f32 v102, v10, v4, v102                              // 00000000CC30: D1CB0066 059A090A
	v_fma_f32 v103, v11, v4, v103                              // 00000000CC38: D1CB0067 059E090B
	v_fma_f32 v128, v12, v4, v128                              // 00000000CC40: D1CB0080 0602090C
	v_fma_f32 v129, v13, v4, v129                              // 00000000CC48: D1CB0081 0606090D
	v_fma_f32 v130, v14, v4, v130                              // 00000000CC50: D1CB0082 060A090E
	v_fma_f32 v131, v15, v4, v131                              // 00000000CC58: D1CB0083 060E090F
	s_waitcnt vmcnt(26)                                        // 00000000CC60: BF8C4F7A
	s_barrier                                                  // 00000000CC64: BF8A0000
	v_mul_f32_dpp v4, v29, v51 row_newbcast:0 row_mask:0xf bank_mask:0xf// 00000000CC68: 0A0866FA FF01501D
	v_mfma_f32_16x16x32_fp8_fp8 v[8:11], a[144:145], a[0:1], 0 // 00000000CC70: D3F30008 1A020190
	buffer_load_dword v27, v23, s[32:35], 0 offen              // 00000000CC78: E0501000 80081B17
	buffer_load_dwordx4 a[128:131], v72, s[84:87], 0 offen     // 00000000CC80: E05C1000 80958048
	v_mfma_f32_16x16x32_fp8_fp8 v[8:11], a[146:147], a[2:3], v[8:11]// 00000000CC88: D3F30008 1C220592
	v_mfma_f32_16x16x32_fp8_fp8 v[8:11], a[148:149], a[4:5], v[8:11]// 00000000CC90: D3F30008 1C220994
	ds_read_b128 a[56:59], v2                                  // 00000000CC98: DBFE0000 38000002
	ds_read_b128 a[60:63], v2 offset:64                        // 00000000CCA0: DBFE0040 3C000002
	v_mfma_f32_16x16x32_fp8_fp8 v[8:11], a[150:151], a[6:7], v[8:11]// 00000000CCA8: D3F30008 1C220D96
	v_mfma_f32_16x16x32_fp8_fp8 v[12:15], a[152:153], a[0:1], 0// 00000000CCB0: D3F3000C 1A020198
	buffer_load_dwordx4 a[132:135], v72, s[84:87], 0 offen offset:1024// 00000000CCB8: E05C1400 80958448
	v_mfma_f32_16x16x32_fp8_fp8 v[12:15], a[154:155], a[2:3], v[12:15]// 00000000CCC0: D3F3000C 1C32059A
	v_mfma_f32_16x16x32_fp8_fp8 v[12:15], a[156:157], a[4:5], v[12:15]// 00000000CCC8: D3F3000C 1C32099C
	ds_read_b128 a[64:67], v2 offset:512                       // 00000000CCD0: DBFE0200 40000002
	ds_read_b128 a[68:71], v2 offset:576                       // 00000000CCD8: DBFE0240 44000002
	v_mfma_f32_16x16x32_fp8_fp8 v[12:15], a[158:159], a[6:7], v[12:15]// 00000000CCE0: D3F3000C 1C320D9E
	v_fma_f32 v132, v8, v4, v132                               // 00000000CCE8: D1CB0084 06120908
	v_fma_f32 v133, v9, v4, v133                               // 00000000CCF0: D1CB0085 06160909
	v_fma_f32 v134, v10, v4, v134                              // 00000000CCF8: D1CB0086 061A090A
	v_fma_f32 v135, v11, v4, v135                              // 00000000CD00: D1CB0087 061E090B
	v_mul_f32_dpp v6, v29, v52 row_newbcast:0 row_mask:0xf bank_mask:0xf// 00000000CD08: 0A0C68FA FF01501D
	v_mfma_f32_16x16x32_fp8_fp8 v[8:11], a[144:145], a[8:9], 0 // 00000000CD10: D3F30008 1A021190
	buffer_load_dwordx4 a[136:139], v73, s[84:87], 0 offen     // 00000000CD18: E05C1000 80958849
	v_mfma_f32_16x16x32_fp8_fp8 v[8:11], a[146:147], a[10:11], v[8:11]// 00000000CD20: D3F30008 1C221592
	v_mfma_f32_16x16x32_fp8_fp8 v[8:11], a[148:149], a[12:13], v[8:11]// 00000000CD28: D3F30008 1C221994
	ds_read_b128 a[72:75], v2 offset:1024                      // 00000000CD30: DBFE0400 48000002
	ds_read_b128 a[76:79], v2 offset:1088                      // 00000000CD38: DBFE0440 4C000002
	v_mfma_f32_16x16x32_fp8_fp8 v[8:11], a[150:151], a[14:15], v[8:11]// 00000000CD40: D3F30008 1C221D96
	v_fma_f32 v160, v12, v4, v160                              // 00000000CD48: D1CB00A0 0682090C
	v_fma_f32 v161, v13, v4, v161                              // 00000000CD50: D1CB00A1 0686090D
	v_fma_f32 v162, v14, v4, v162                              // 00000000CD58: D1CB00A2 068A090E
	v_fma_f32 v163, v15, v4, v163                              // 00000000CD60: D1CB00A3 068E090F
	v_mfma_f32_16x16x32_fp8_fp8 v[12:15], a[152:153], a[8:9], 0// 00000000CD68: D3F3000C 1A021198
	buffer_load_dwordx4 a[140:143], v73, s[84:87], 0 offen offset:1024// 00000000CD70: E05C1400 80958C49
	v_mfma_f32_16x16x32_fp8_fp8 v[12:15], a[154:155], a[10:11], v[12:15]// 00000000CD78: D3F3000C 1C32159A
	v_mfma_f32_16x16x32_fp8_fp8 v[12:15], a[156:157], a[12:13], v[12:15]// 00000000CD80: D3F3000C 1C32199C
	ds_read_b128 a[80:83], v2 offset:1536                      // 00000000CD88: DBFE0600 50000002
	ds_read_b128 a[84:87], v2 offset:1600                      // 00000000CD90: DBFE0640 54000002
	v_mfma_f32_16x16x32_fp8_fp8 v[12:15], a[158:159], a[14:15], v[12:15]// 00000000CD98: D3F3000C 1C321D9E
	v_fma_f32 v136, v8, v6, v136                               // 00000000CDA0: D1CB0088 06220D08
	v_fma_f32 v137, v9, v6, v137                               // 00000000CDA8: D1CB0089 06260D09
	v_fma_f32 v138, v10, v6, v138                              // 00000000CDB0: D1CB008A 062A0D0A
	v_fma_f32 v139, v11, v6, v139                              // 00000000CDB8: D1CB008B 062E0D0B
	v_mul_f32_dpp v4, v29, v53 row_newbcast:0 row_mask:0xf bank_mask:0xf// 00000000CDC0: 0A086AFA FF01501D
	v_mfma_f32_16x16x32_fp8_fp8 v[8:11], a[144:145], a[16:17], 0// 00000000CDC8: D3F30008 1A022190
	v_mfma_f32_16x16x32_fp8_fp8 v[8:11], a[146:147], a[18:19], v[8:11]// 00000000CDD0: D3F30008 1C222592
	v_mfma_f32_16x16x32_fp8_fp8 v[8:11], a[148:149], a[20:21], v[8:11]// 00000000CDD8: D3F30008 1C222994
	ds_read_b128 a[88:91], v2 offset:2048                      // 00000000CDE0: DBFE0800 58000002
	ds_read_b128 a[92:95], v2 offset:2112                      // 00000000CDE8: DBFE0840 5C000002
	v_mfma_f32_16x16x32_fp8_fp8 v[8:11], a[150:151], a[22:23], v[8:11]// 00000000CDF0: D3F30008 1C222D96
	v_fma_f32 v164, v12, v6, v164                              // 00000000CDF8: D1CB00A4 06920D0C
	v_fma_f32 v165, v13, v6, v165                              // 00000000CE00: D1CB00A5 06960D0D
	v_fma_f32 v166, v14, v6, v166                              // 00000000CE08: D1CB00A6 069A0D0E
	v_fma_f32 v167, v15, v6, v167                              // 00000000CE10: D1CB00A7 069E0D0F
	v_mfma_f32_16x16x32_fp8_fp8 v[12:15], a[152:153], a[16:17], 0// 00000000CE18: D3F3000C 1A022198
	v_mfma_f32_16x16x32_fp8_fp8 v[12:15], a[154:155], a[18:19], v[12:15]// 00000000CE20: D3F3000C 1C32259A
	v_mfma_f32_16x16x32_fp8_fp8 v[12:15], a[156:157], a[20:21], v[12:15]// 00000000CE28: D3F3000C 1C32299C
	ds_read_b128 a[96:99], v2 offset:2560                      // 00000000CE30: DBFE0A00 60000002
	ds_read_b128 a[100:103], v2 offset:2624                    // 00000000CE38: DBFE0A40 64000002
	v_mfma_f32_16x16x32_fp8_fp8 v[12:15], a[158:159], a[22:23], v[12:15]// 00000000CE40: D3F3000C 1C322D9E
	v_fma_f32 v140, v8, v4, v140                               // 00000000CE48: D1CB008C 06320908
	v_fma_f32 v141, v9, v4, v141                               // 00000000CE50: D1CB008D 06360909
	v_fma_f32 v142, v10, v4, v142                              // 00000000CE58: D1CB008E 063A090A
	v_fma_f32 v143, v11, v4, v143                              // 00000000CE60: D1CB008F 063E090B
	v_mul_f32_dpp v6, v29, v54 row_newbcast:0 row_mask:0xf bank_mask:0xf// 00000000CE68: 0A0C6CFA FF01501D
	v_mfma_f32_16x16x32_fp8_fp8 v[8:11], a[144:145], a[24:25], 0// 00000000CE70: D3F30008 1A023190
	v_mfma_f32_16x16x32_fp8_fp8 v[8:11], a[146:147], a[26:27], v[8:11]// 00000000CE78: D3F30008 1C223592
	v_mfma_f32_16x16x32_fp8_fp8 v[8:11], a[148:149], a[28:29], v[8:11]// 00000000CE80: D3F30008 1C223994
	ds_read_b128 a[104:107], v2 offset:3072                    // 00000000CE88: DBFE0C00 68000002
	ds_read_b128 a[108:111], v2 offset:3136                    // 00000000CE90: DBFE0C40 6C000002
	v_mfma_f32_16x16x32_fp8_fp8 v[8:11], a[150:151], a[30:31], v[8:11]// 00000000CE98: D3F30008 1C223D96
	v_fma_f32 v168, v12, v4, v168                              // 00000000CEA0: D1CB00A8 06A2090C
	v_fma_f32 v169, v13, v4, v169                              // 00000000CEA8: D1CB00A9 06A6090D
	v_fma_f32 v170, v14, v4, v170                              // 00000000CEB0: D1CB00AA 06AA090E
	v_fma_f32 v171, v15, v4, v171                              // 00000000CEB8: D1CB00AB 06AE090F
	v_mfma_f32_16x16x32_fp8_fp8 v[12:15], a[152:153], a[24:25], 0// 00000000CEC0: D3F3000C 1A023198
	v_mfma_f32_16x16x32_fp8_fp8 v[12:15], a[154:155], a[26:27], v[12:15]// 00000000CEC8: D3F3000C 1C32359A
	v_mfma_f32_16x16x32_fp8_fp8 v[12:15], a[156:157], a[28:29], v[12:15]// 00000000CED0: D3F3000C 1C32399C
	v_mfma_f32_16x16x32_fp8_fp8 v[12:15], a[158:159], a[30:31], v[12:15]// 00000000CED8: D3F3000C 1C323D9E
	v_fma_f32 v144, v8, v6, v144                               // 00000000CEE0: D1CB0090 06420D08
	v_fma_f32 v145, v9, v6, v145                               // 00000000CEE8: D1CB0091 06460D09
	v_fma_f32 v146, v10, v6, v146                              // 00000000CEF0: D1CB0092 064A0D0A
	v_fma_f32 v147, v11, v6, v147                              // 00000000CEF8: D1CB0093 064E0D0B
	v_mul_f32_dpp v4, v29, v55 row_newbcast:0 row_mask:0xf bank_mask:0xf// 00000000CF00: 0A086EFA FF01501D
	v_mfma_f32_16x16x32_fp8_fp8 v[8:11], a[144:145], a[32:33], 0// 00000000CF08: D3F30008 1A024190
	v_mfma_f32_16x16x32_fp8_fp8 v[8:11], a[146:147], a[34:35], v[8:11]// 00000000CF10: D3F30008 1C224592
	v_mfma_f32_16x16x32_fp8_fp8 v[8:11], a[148:149], a[36:37], v[8:11]// 00000000CF18: D3F30008 1C224994
	v_mfma_f32_16x16x32_fp8_fp8 v[8:11], a[150:151], a[38:39], v[8:11]// 00000000CF20: D3F30008 1C224D96
	v_fma_f32 v172, v12, v6, v172                              // 00000000CF28: D1CB00AC 06B20D0C
	v_fma_f32 v173, v13, v6, v173                              // 00000000CF30: D1CB00AD 06B60D0D
	v_fma_f32 v174, v14, v6, v174                              // 00000000CF38: D1CB00AE 06BA0D0E
	v_fma_f32 v175, v15, v6, v175                              // 00000000CF40: D1CB00AF 06BE0D0F
	v_mfma_f32_16x16x32_fp8_fp8 v[12:15], a[152:153], a[32:33], 0// 00000000CF48: D3F3000C 1A024198
	v_mfma_f32_16x16x32_fp8_fp8 v[12:15], a[154:155], a[34:35], v[12:15]// 00000000CF50: D3F3000C 1C32459A
	v_mfma_f32_16x16x32_fp8_fp8 v[12:15], a[156:157], a[36:37], v[12:15]// 00000000CF58: D3F3000C 1C32499C
	v_mfma_f32_16x16x32_fp8_fp8 v[12:15], a[158:159], a[38:39], v[12:15]// 00000000CF60: D3F3000C 1C324D9E
	v_fma_f32 v148, v8, v4, v148                               // 00000000CF68: D1CB0094 06520908
	v_fma_f32 v149, v9, v4, v149                               // 00000000CF70: D1CB0095 06560909
	v_fma_f32 v150, v10, v4, v150                              // 00000000CF78: D1CB0096 065A090A
	v_fma_f32 v151, v11, v4, v151                              // 00000000CF80: D1CB0097 065E090B
	v_mul_f32_dpp v6, v29, v56 row_newbcast:0 row_mask:0xf bank_mask:0xf// 00000000CF88: 0A0C70FA FF01501D
	v_mfma_f32_16x16x32_fp8_fp8 v[8:11], a[144:145], a[40:41], 0// 00000000CF90: D3F30008 1A025190
	v_mfma_f32_16x16x32_fp8_fp8 v[8:11], a[146:147], a[42:43], v[8:11]// 00000000CF98: D3F30008 1C225592
	v_mfma_f32_16x16x32_fp8_fp8 v[8:11], a[148:149], a[44:45], v[8:11]// 00000000CFA0: D3F30008 1C225994
	v_mfma_f32_16x16x32_fp8_fp8 v[8:11], a[150:151], a[46:47], v[8:11]// 00000000CFA8: D3F30008 1C225D96
	v_fma_f32 v176, v12, v4, v176                              // 00000000CFB0: D1CB00B0 06C2090C
	v_fma_f32 v177, v13, v4, v177                              // 00000000CFB8: D1CB00B1 06C6090D
	v_fma_f32 v178, v14, v4, v178                              // 00000000CFC0: D1CB00B2 06CA090E
	v_fma_f32 v179, v15, v4, v179                              // 00000000CFC8: D1CB00B3 06CE090F
	v_mfma_f32_16x16x32_fp8_fp8 v[12:15], a[152:153], a[40:41], 0// 00000000CFD0: D3F3000C 1A025198
	v_mfma_f32_16x16x32_fp8_fp8 v[12:15], a[154:155], a[42:43], v[12:15]// 00000000CFD8: D3F3000C 1C32559A
	v_mfma_f32_16x16x32_fp8_fp8 v[12:15], a[156:157], a[44:45], v[12:15]// 00000000CFE0: D3F3000C 1C32599C
	v_mfma_f32_16x16x32_fp8_fp8 v[12:15], a[158:159], a[46:47], v[12:15]// 00000000CFE8: D3F3000C 1C325D9E
	v_fma_f32 v152, v8, v6, v152                               // 00000000CFF0: D1CB0098 06620D08
	v_fma_f32 v153, v9, v6, v153                               // 00000000CFF8: D1CB0099 06660D09
	v_fma_f32 v154, v10, v6, v154                              // 00000000D000: D1CB009A 066A0D0A
	v_fma_f32 v155, v11, v6, v155                              // 00000000D008: D1CB009B 066E0D0B
	v_mul_f32_dpp v4, v29, v57 row_newbcast:0 row_mask:0xf bank_mask:0xf// 00000000D010: 0A0872FA FF01501D
	v_mfma_f32_16x16x32_fp8_fp8 v[8:11], a[144:145], a[48:49], 0// 00000000D018: D3F30008 1A026190
	s_add_u32 s60, 0x180, s80                                  // 00000000D020: 803C50FF 00000180
	s_cmp_lt_u32 s60, s81                                      // 00000000D028: BF0A513C
	s_cselect_b32 s57, s57, 0                                  // 00000000D02C: 85398039
	s_cselect_b32 s3, s3, 0                                    // 00000000D030: 85038003
	v_mfma_f32_16x16x32_fp8_fp8 v[8:11], a[146:147], a[50:51], v[8:11]// 00000000D034: D3F30008 1C226592
	s_add_u32 s60, 0x100, s80                                  // 00000000D03C: 803C50FF 00000100
	s_cmp_lt_u32 s60, s81                                      // 00000000D044: BF0A513C
	s_cselect_b32 s58, s58, 0                                  // 00000000D048: 853A803A
	v_mfma_f32_16x16x32_fp8_fp8 v[8:11], a[148:149], a[52:53], v[8:11]// 00000000D04C: D3F30008 1C226994
	s_add_u32 s60, 0x100, s80                                  // 00000000D054: 803C50FF 00000100
	s_cmp_lt_u32 s60, s81                                      // 00000000D05C: BF0A513C
	s_cselect_b32 s83, s83, 0                                  // 00000000D060: 85538053
	s_cselect_b32 s4, s4, 0                                    // 00000000D064: 85048004
	v_mfma_f32_16x16x32_fp8_fp8 v[8:11], a[150:151], a[54:55], v[8:11]// 00000000D068: D3F30008 1C226D96
	s_add_u32 s24, s58, s24                                    // 00000000D070: 8018183A
	s_addc_u32 s25, 0, s25                                     // 00000000D074: 82191980
	v_fma_f32 v180, v12, v6, v180                              // 00000000D078: D1CB00B4 06D20D0C
	v_fma_f32 v181, v13, v6, v181                              // 00000000D080: D1CB00B5 06D60D0D
	v_fma_f32 v182, v14, v6, v182                              // 00000000D088: D1CB00B6 06DA0D0E
	v_fma_f32 v183, v15, v6, v183                              // 00000000D090: D1CB00B7 06DE0D0F
	v_mfma_f32_16x16x32_fp8_fp8 v[12:15], a[152:153], a[48:49], 0// 00000000D098: D3F3000C 1A026198
	s_add_u32 s20, s57, s20                                    // 00000000D0A0: 80141439
	s_addc_u32 s21, 0, s21                                     // 00000000D0A4: 82151580
	s_add_u32 s28, s3, s28                                     // 00000000D0A8: 801C1C03
	s_addc_u32 s29, 0, s29                                     // 00000000D0AC: 821D1D80
	v_mfma_f32_16x16x32_fp8_fp8 v[12:15], a[154:155], a[50:51], v[12:15]// 00000000D0B0: D3F3000C 1C32659A
	s_add_u32 s84, s83, s84                                    // 00000000D0B8: 80545453
	s_addc_u32 s85, 0, s85                                     // 00000000D0BC: 82555580
	v_mfma_f32_16x16x32_fp8_fp8 v[12:15], a[156:157], a[52:53], v[12:15]// 00000000D0C0: D3F3000C 1C32699C
	s_add_u32 s32, s4, s32                                     // 00000000D0C8: 80202004
	s_addc_u32 s33, 0, s33                                     // 00000000D0CC: 82212180
	v_mfma_f32_16x16x32_fp8_fp8 v[12:15], a[158:159], a[54:55], v[12:15]// 00000000D0D0: D3F3000C 1C326D9E
	v_fma_f32 v156, v8, v4, v156                               // 00000000D0D8: D1CB009C 06720908
	v_fma_f32 v157, v9, v4, v157                               // 00000000D0E0: D1CB009D 06760909
	v_fma_f32 v158, v10, v4, v158                              // 00000000D0E8: D1CB009E 067A090A
	v_fma_f32 v159, v11, v4, v159                              // 00000000D0F0: D1CB009F 067E090B
	v_fma_f32 v184, v12, v4, v184                              // 00000000D0F8: D1CB00B8 06E2090C
	v_fma_f32 v185, v13, v4, v185                              // 00000000D100: D1CB00B9 06E6090D
	v_fma_f32 v186, v14, v4, v186                              // 00000000D108: D1CB00BA 06EA090E
	v_fma_f32 v187, v15, v4, v187                              // 00000000D110: D1CB00BB 06EE090F
	s_addk_i32 s80, 0x80                                       // 00000000D118: B7500080
	s_cmp_lt_i32 s80, s81                                      // 00000000D11C: BF045150
	s_cbranch_scc0 label_311A                                  // 00000000D120: BF84074E
	s_waitcnt vmcnt(26) lgkmcnt(0)                             // 00000000D124: BF8C407A
	v_mul_f32_dpp v4, v24, v37 row_newbcast:0 row_mask:0xf bank_mask:0xf// 00000000D128: 0A084AFA FF015018
	v_mfma_f32_16x16x32_fp8_fp8 v[8:11], a[112:113], a[56:57], 0// 00000000D130: D3F30008 1A027170
	buffer_load_dword v25, v22, s[32:35], 0 offen              // 00000000D138: E0501000 80081916
	buffer_load_dwordx4 a[144:147], v72, s[24:27], 0 offen     // 00000000D140: E05C1000 80869048
	v_mfma_f32_16x16x32_fp8_fp8 v[8:11], a[114:115], a[58:59], v[8:11]// 00000000D148: D3F30008 1C227572
	v_mfma_f32_16x16x32_fp8_fp8 v[8:11], a[116:117], a[60:61], v[8:11]// 00000000D150: D3F30008 1C227974
	v_mfma_f32_16x16x32_fp8_fp8 v[8:11], a[118:119], a[62:63], v[8:11]// 00000000D158: D3F30008 1C227D76
	v_mfma_f32_16x16x32_fp8_fp8 v[12:15], a[120:121], a[56:57], 0// 00000000D160: D3F3000C 1A027178
	buffer_load_dwordx4 a[148:151], v72, s[24:27], 0 offen offset:1024// 00000000D168: E05C1400 80869448
	v_mfma_f32_16x16x32_fp8_fp8 v[12:15], a[122:123], a[58:59], v[12:15]// 00000000D170: D3F3000C 1C32757A
	v_mfma_f32_16x16x32_fp8_fp8 v[12:15], a[124:125], a[60:61], v[12:15]// 00000000D178: D3F3000C 1C32797C
	v_mfma_f32_16x16x32_fp8_fp8 v[12:15], a[126:127], a[62:63], v[12:15]// 00000000D180: D3F3000C 1C327D7E
	v_fma_f32 v76, v8, v4, v76                                 // 00000000D188: D1CB004C 05320908
	v_fma_f32 v77, v9, v4, v77                                 // 00000000D190: D1CB004D 05360909
	v_fma_f32 v78, v10, v4, v78                                // 00000000D198: D1CB004E 053A090A
	v_fma_f32 v79, v11, v4, v79                                // 00000000D1A0: D1CB004F 053E090B
	v_mul_f32_dpp v6, v24, v38 row_newbcast:0 row_mask:0xf bank_mask:0xf// 00000000D1A8: 0A0C4CFA FF015018
	v_mfma_f32_16x16x32_fp8_fp8 v[8:11], a[112:113], a[64:65], 0// 00000000D1B0: D3F30008 1A028170
	buffer_load_dwordx4 a[152:155], v73, s[24:27], 0 offen     // 00000000D1B8: E05C1000 80869849
	v_mfma_f32_16x16x32_fp8_fp8 v[8:11], a[114:115], a[66:67], v[8:11]// 00000000D1C0: D3F30008 1C228572
	v_mfma_f32_16x16x32_fp8_fp8 v[8:11], a[116:117], a[68:69], v[8:11]// 00000000D1C8: D3F30008 1C228974
	v_mfma_f32_16x16x32_fp8_fp8 v[8:11], a[118:119], a[70:71], v[8:11]// 00000000D1D0: D3F30008 1C228D76
	v_fma_f32 v104, v12, v4, v104                              // 00000000D1D8: D1CB0068 05A2090C
	v_fma_f32 v105, v13, v4, v105                              // 00000000D1E0: D1CB0069 05A6090D
	v_fma_f32 v106, v14, v4, v106                              // 00000000D1E8: D1CB006A 05AA090E
	v_fma_f32 v107, v15, v4, v107                              // 00000000D1F0: D1CB006B 05AE090F
	v_mfma_f32_16x16x32_fp8_fp8 v[12:15], a[120:121], a[64:65], 0// 00000000D1F8: D3F3000C 1A028178
	buffer_load_dwordx4 a[156:159], v73, s[24:27], 0 offen offset:1024// 00000000D200: E05C1400 80869C49
	buffer_load_dword v58, s[20:23], 0 offen lds               // 00000000D208: E0511000 8005003A
	s_add_u32 m0, 0x100, s50                                   // 00000000D210: 807C32FF 00000100
	v_mfma_f32_16x16x32_fp8_fp8 v[12:15], a[122:123], a[66:67], v[12:15]// 00000000D218: D3F3000C 1C32857A
	v_mfma_f32_16x16x32_fp8_fp8 v[12:15], a[124:125], a[68:69], v[12:15]// 00000000D220: D3F3000C 1C32897C
	buffer_load_dword v59, s[20:23], 0 offen lds               // 00000000D228: E0511000 8005003B
	s_add_u32 m0, 0x200, s50                                   // 00000000D230: 807C32FF 00000200
	v_mfma_f32_16x16x32_fp8_fp8 v[12:15], a[126:127], a[70:71], v[12:15]// 00000000D238: D3F3000C 1C328D7E
	v_fma_f32 v80, v8, v6, v80                                 // 00000000D240: D1CB0050 05420D08
	v_fma_f32 v81, v9, v6, v81                                 // 00000000D248: D1CB0051 05460D09
	v_fma_f32 v82, v10, v6, v82                                // 00000000D250: D1CB0052 054A0D0A
	v_fma_f32 v83, v11, v6, v83                                // 00000000D258: D1CB0053 054E0D0B
	v_mul_f32_dpp v4, v24, v39 row_newbcast:0 row_mask:0xf bank_mask:0xf// 00000000D260: 0A084EFA FF015018
	v_mfma_f32_16x16x32_fp8_fp8 v[8:11], a[112:113], a[72:73], 0// 00000000D268: D3F30008 1A029170
	buffer_load_dword v60, s[20:23], 0 offen lds               // 00000000D270: E0511000 8005003C
	s_add_u32 m0, 0x300, s50                                   // 00000000D278: 807C32FF 00000300
	v_mfma_f32_16x16x32_fp8_fp8 v[8:11], a[114:115], a[74:75], v[8:11]// 00000000D280: D3F30008 1C229572
	v_mfma_f32_16x16x32_fp8_fp8 v[8:11], a[116:117], a[76:77], v[8:11]// 00000000D288: D3F30008 1C229974
	buffer_load_dword v61, s[20:23], 0 offen lds               // 00000000D290: E0511000 8005003D
	s_add_u32 m0, 0x400, s50                                   // 00000000D298: 807C32FF 00000400
	v_mfma_f32_16x16x32_fp8_fp8 v[8:11], a[118:119], a[78:79], v[8:11]// 00000000D2A0: D3F30008 1C229D76
	v_fma_f32 v108, v12, v6, v108                              // 00000000D2A8: D1CB006C 05B20D0C
	v_fma_f32 v109, v13, v6, v109                              // 00000000D2B0: D1CB006D 05B60D0D
	v_fma_f32 v110, v14, v6, v110                              // 00000000D2B8: D1CB006E 05BA0D0E
	v_fma_f32 v111, v15, v6, v111                              // 00000000D2C0: D1CB006F 05BE0D0F
	v_mfma_f32_16x16x32_fp8_fp8 v[12:15], a[120:121], a[72:73], 0// 00000000D2C8: D3F3000C 1A029178
	buffer_load_dword v62, s[20:23], 0 offen lds               // 00000000D2D0: E0511000 8005003E
	s_add_u32 m0, 0x500, s50                                   // 00000000D2D8: 807C32FF 00000500
	v_mfma_f32_16x16x32_fp8_fp8 v[12:15], a[122:123], a[74:75], v[12:15]// 00000000D2E0: D3F3000C 1C32957A
	v_mfma_f32_16x16x32_fp8_fp8 v[12:15], a[124:125], a[76:77], v[12:15]// 00000000D2E8: D3F3000C 1C32997C
	buffer_load_dword v63, s[20:23], 0 offen lds               // 00000000D2F0: E0511000 8005003F
	s_add_u32 m0, 0x600, s50                                   // 00000000D2F8: 807C32FF 00000600
	v_mfma_f32_16x16x32_fp8_fp8 v[12:15], a[126:127], a[78:79], v[12:15]// 00000000D300: D3F3000C 1C329D7E
	v_fma_f32 v84, v8, v4, v84                                 // 00000000D308: D1CB0054 05520908
	v_fma_f32 v85, v9, v4, v85                                 // 00000000D310: D1CB0055 05560909
	v_fma_f32 v86, v10, v4, v86                                // 00000000D318: D1CB0056 055A090A
	v_fma_f32 v87, v11, v4, v87                                // 00000000D320: D1CB0057 055E090B
	v_mul_f32_dpp v6, v24, v40 row_newbcast:0 row_mask:0xf bank_mask:0xf// 00000000D328: 0A0C50FA FF015018
	v_mfma_f32_16x16x32_fp8_fp8 v[8:11], a[112:113], a[80:81], 0// 00000000D330: D3F30008 1A02A170
	buffer_load_dword v64, s[20:23], 0 offen lds               // 00000000D338: E0511000 80050040
	s_add_u32 m0, 0x700, s50                                   // 00000000D340: 807C32FF 00000700
	v_mfma_f32_16x16x32_fp8_fp8 v[8:11], a[114:115], a[82:83], v[8:11]// 00000000D348: D3F30008 1C22A572
	v_mfma_f32_16x16x32_fp8_fp8 v[8:11], a[116:117], a[84:85], v[8:11]// 00000000D350: D3F30008 1C22A974
	buffer_load_dword v65, s[20:23], 0 offen lds               // 00000000D358: E0511000 80050041
	s_add_u32 m0, 0x800, s50                                   // 00000000D360: 807C32FF 00000800
	v_mfma_f32_16x16x32_fp8_fp8 v[8:11], a[118:119], a[86:87], v[8:11]// 00000000D368: D3F30008 1C22AD76
	v_fma_f32 v112, v12, v4, v112                              // 00000000D370: D1CB0070 05C2090C
	v_fma_f32 v113, v13, v4, v113                              // 00000000D378: D1CB0071 05C6090D
	v_fma_f32 v114, v14, v4, v114                              // 00000000D380: D1CB0072 05CA090E
	v_fma_f32 v115, v15, v4, v115                              // 00000000D388: D1CB0073 05CE090F
	v_mfma_f32_16x16x32_fp8_fp8 v[12:15], a[120:121], a[80:81], 0// 00000000D390: D3F3000C 1A02A178
	buffer_load_dword v66, s[20:23], 0 offen lds               // 00000000D398: E0511000 80050042
	s_add_u32 m0, 0x900, s50                                   // 00000000D3A0: 807C32FF 00000900
	v_mfma_f32_16x16x32_fp8_fp8 v[12:15], a[122:123], a[82:83], v[12:15]// 00000000D3A8: D3F3000C 1C32A57A
	v_mfma_f32_16x16x32_fp8_fp8 v[12:15], a[124:125], a[84:85], v[12:15]// 00000000D3B0: D3F3000C 1C32A97C
	buffer_load_dword v67, s[20:23], 0 offen lds               // 00000000D3B8: E0511000 80050043
	s_add_u32 m0, 0xa00, s50                                   // 00000000D3C0: 807C32FF 00000A00
	v_mfma_f32_16x16x32_fp8_fp8 v[12:15], a[126:127], a[86:87], v[12:15]// 00000000D3C8: D3F3000C 1C32AD7E
	v_fma_f32 v88, v8, v6, v88                                 // 00000000D3D0: D1CB0058 05620D08
	v_fma_f32 v89, v9, v6, v89                                 // 00000000D3D8: D1CB0059 05660D09
	v_fma_f32 v90, v10, v6, v90                                // 00000000D3E0: D1CB005A 056A0D0A
	v_fma_f32 v91, v11, v6, v91                                // 00000000D3E8: D1CB005B 056E0D0B
	v_mul_f32_dpp v4, v24, v41 row_newbcast:0 row_mask:0xf bank_mask:0xf// 00000000D3F0: 0A0852FA FF015018
	v_mfma_f32_16x16x32_fp8_fp8 v[8:11], a[112:113], a[88:89], 0// 00000000D3F8: D3F30008 1A02B170
	buffer_load_dword v68, s[20:23], 0 offen lds               // 00000000D400: E0511000 80050044
	s_add_u32 m0, 0xb00, s50                                   // 00000000D408: 807C32FF 00000B00
	v_mfma_f32_16x16x32_fp8_fp8 v[8:11], a[114:115], a[90:91], v[8:11]// 00000000D410: D3F30008 1C22B572
	v_mfma_f32_16x16x32_fp8_fp8 v[8:11], a[116:117], a[92:93], v[8:11]// 00000000D418: D3F30008 1C22B974
	buffer_load_dword v69, s[20:23], 0 offen lds               // 00000000D420: E0511000 80050045
	s_add_u32 m0, 0xc00, s50                                   // 00000000D428: 807C32FF 00000C00
	v_mfma_f32_16x16x32_fp8_fp8 v[8:11], a[118:119], a[94:95], v[8:11]// 00000000D430: D3F30008 1C22BD76
	v_fma_f32 v116, v12, v6, v116                              // 00000000D438: D1CB0074 05D20D0C
	v_fma_f32 v117, v13, v6, v117                              // 00000000D440: D1CB0075 05D60D0D
	v_fma_f32 v118, v14, v6, v118                              // 00000000D448: D1CB0076 05DA0D0E
	v_fma_f32 v119, v15, v6, v119                              // 00000000D450: D1CB0077 05DE0D0F
	v_mfma_f32_16x16x32_fp8_fp8 v[12:15], a[120:121], a[88:89], 0// 00000000D458: D3F3000C 1A02B178
	buffer_load_dword v70, s[20:23], 0 offen lds               // 00000000D460: E0511000 80050046
	s_add_u32 m0, 0xd00, s50                                   // 00000000D468: 807C32FF 00000D00
	v_mfma_f32_16x16x32_fp8_fp8 v[12:15], a[122:123], a[90:91], v[12:15]// 00000000D470: D3F3000C 1C32B57A
	v_mfma_f32_16x16x32_fp8_fp8 v[12:15], a[124:125], a[92:93], v[12:15]// 00000000D478: D3F3000C 1C32B97C
	buffer_load_dword v71, s[20:23], 0 offen lds               // 00000000D480: E0511000 80050047
	s_add_u32 m0, 0, s48                                       // 00000000D488: 807C3080
	v_mfma_f32_16x16x32_fp8_fp8 v[12:15], a[126:127], a[94:95], v[12:15]// 00000000D48C: D3F3000C 1C32BD7E
	v_fma_f32 v92, v8, v4, v92                                 // 00000000D494: D1CB005C 05720908
	v_fma_f32 v93, v9, v4, v93                                 // 00000000D49C: D1CB005D 05760909
	v_fma_f32 v94, v10, v4, v94                                // 00000000D4A4: D1CB005E 057A090A
	v_fma_f32 v95, v11, v4, v95                                // 00000000D4AC: D1CB005F 057E090B
	v_mul_f32_dpp v6, v24, v42 row_newbcast:0 row_mask:0xf bank_mask:0xf// 00000000D4B4: 0A0C54FA FF015018
	v_mfma_f32_16x16x32_fp8_fp8 v[8:11], a[112:113], a[96:97], 0// 00000000D4BC: D3F30008 1A02C170
	buffer_load_dword v51, v30, s[28:31], 0 offen              // 00000000D4C4: E0501000 8007331E
	v_mfma_f32_16x16x32_fp8_fp8 v[8:11], a[114:115], a[98:99], v[8:11]// 00000000D4CC: D3F30008 1C22C572
	v_mfma_f32_16x16x32_fp8_fp8 v[8:11], a[116:117], a[100:101], v[8:11]// 00000000D4D4: D3F30008 1C22C974
	buffer_load_dword v52, v31, s[28:31], 0 offen              // 00000000D4DC: E0501000 8007341F
	v_mfma_f32_16x16x32_fp8_fp8 v[8:11], a[118:119], a[102:103], v[8:11]// 00000000D4E4: D3F30008 1C22CD76
	v_fma_f32 v120, v12, v4, v120                              // 00000000D4EC: D1CB0078 05E2090C
	v_fma_f32 v121, v13, v4, v121                              // 00000000D4F4: D1CB0079 05E6090D
	v_fma_f32 v122, v14, v4, v122                              // 00000000D4FC: D1CB007A 05EA090E
	v_fma_f32 v123, v15, v4, v123                              // 00000000D504: D1CB007B 05EE090F
	v_mfma_f32_16x16x32_fp8_fp8 v[12:15], a[120:121], a[96:97], 0// 00000000D50C: D3F3000C 1A02C178
	buffer_load_dword v53, v32, s[28:31], 0 offen              // 00000000D514: E0501000 80073520
	v_mfma_f32_16x16x32_fp8_fp8 v[12:15], a[122:123], a[98:99], v[12:15]// 00000000D51C: D3F3000C 1C32C57A
	v_mfma_f32_16x16x32_fp8_fp8 v[12:15], a[124:125], a[100:101], v[12:15]// 00000000D524: D3F3000C 1C32C97C
	buffer_load_dword v54, v33, s[28:31], 0 offen              // 00000000D52C: E0501000 80073621
	v_mfma_f32_16x16x32_fp8_fp8 v[12:15], a[126:127], a[102:103], v[12:15]// 00000000D534: D3F3000C 1C32CD7E
	v_fma_f32 v96, v8, v6, v96                                 // 00000000D53C: D1CB0060 05820D08
	v_fma_f32 v97, v9, v6, v97                                 // 00000000D544: D1CB0061 05860D09
	v_fma_f32 v98, v10, v6, v98                                // 00000000D54C: D1CB0062 058A0D0A
	v_fma_f32 v99, v11, v6, v99                                // 00000000D554: D1CB0063 058E0D0B
	v_mul_f32_dpp v4, v24, v43 row_newbcast:0 row_mask:0xf bank_mask:0xf// 00000000D55C: 0A0856FA FF015018
	v_mfma_f32_16x16x32_fp8_fp8 v[8:11], a[112:113], a[104:105], 0// 00000000D564: D3F30008 1A02D170
	buffer_load_dword v55, v34, s[28:31], 0 offen              // 00000000D56C: E0501000 80073722
	v_mfma_f32_16x16x32_fp8_fp8 v[8:11], a[114:115], a[106:107], v[8:11]// 00000000D574: D3F30008 1C22D572
	v_mfma_f32_16x16x32_fp8_fp8 v[8:11], a[116:117], a[108:109], v[8:11]// 00000000D57C: D3F30008 1C22D974
	buffer_load_dword v56, v35, s[28:31], 0 offen              // 00000000D584: E0501000 80073823
	v_mfma_f32_16x16x32_fp8_fp8 v[8:11], a[118:119], a[110:111], v[8:11]// 00000000D58C: D3F30008 1C22DD76
	v_fma_f32 v124, v12, v6, v124                              // 00000000D594: D1CB007C 05F20D0C
	v_fma_f32 v125, v13, v6, v125                              // 00000000D59C: D1CB007D 05F60D0D
	v_fma_f32 v126, v14, v6, v126                              // 00000000D5A4: D1CB007E 05FA0D0E
	v_fma_f32 v127, v15, v6, v127                              // 00000000D5AC: D1CB007F 05FE0D0F
	v_mfma_f32_16x16x32_fp8_fp8 v[12:15], a[120:121], a[104:105], 0// 00000000D5B4: D3F3000C 1A02D178
	buffer_load_dword v57, v36, s[28:31], 0 offen              // 00000000D5BC: E0501000 80073924
	v_mfma_f32_16x16x32_fp8_fp8 v[12:15], a[122:123], a[106:107], v[12:15]// 00000000D5C4: D3F3000C 1C32D57A
	v_mfma_f32_16x16x32_fp8_fp8 v[12:15], a[124:125], a[108:109], v[12:15]// 00000000D5CC: D3F3000C 1C32D97C
	v_mfma_f32_16x16x32_fp8_fp8 v[12:15], a[126:127], a[110:111], v[12:15]// 00000000D5D4: D3F3000C 1C32DD7E
	v_fma_f32 v100, v8, v4, v100                               // 00000000D5DC: D1CB0064 05920908
	v_fma_f32 v101, v9, v4, v101                               // 00000000D5E4: D1CB0065 05960909
	v_fma_f32 v102, v10, v4, v102                              // 00000000D5EC: D1CB0066 059A090A
	v_fma_f32 v103, v11, v4, v103                              // 00000000D5F4: D1CB0067 059E090B
	v_fma_f32 v128, v12, v4, v128                              // 00000000D5FC: D1CB0080 0602090C
	v_fma_f32 v129, v13, v4, v129                              // 00000000D604: D1CB0081 0606090D
	v_fma_f32 v130, v14, v4, v130                              // 00000000D60C: D1CB0082 060A090E
	v_fma_f32 v131, v15, v4, v131                              // 00000000D614: D1CB0083 060E090F
	s_waitcnt vmcnt(26)                                        // 00000000D61C: BF8C4F7A
	s_barrier                                                  // 00000000D620: BF8A0000
	v_mul_f32_dpp v4, v27, v37 row_newbcast:0 row_mask:0xf bank_mask:0xf// 00000000D624: 0A084AFA FF01501B
	v_mfma_f32_16x16x32_fp8_fp8 v[8:11], a[128:129], a[56:57], 0// 00000000D62C: D3F30008 1A027180
	buffer_load_dword v28, v23, s[32:35], 0 offen              // 00000000D634: E0501000 80081C17
	buffer_load_dwordx4 a[112:115], v72, s[84:87], 0 offen     // 00000000D63C: E05C1000 80957048
	v_mfma_f32_16x16x32_fp8_fp8 v[8:11], a[130:131], a[58:59], v[8:11]// 00000000D644: D3F30008 1C227582
	v_mfma_f32_16x16x32_fp8_fp8 v[8:11], a[132:133], a[60:61], v[8:11]// 00000000D64C: D3F30008 1C227984
	ds_read_b128 a[0:3], v2 offset:14464                       // 00000000D654: DBFE3880 00000002
	ds_read_b128 a[4:7], v2 offset:14528                       // 00000000D65C: DBFE38C0 04000002
	v_mfma_f32_16x16x32_fp8_fp8 v[8:11], a[134:135], a[62:63], v[8:11]// 00000000D664: D3F30008 1C227D86
	v_mfma_f32_16x16x32_fp8_fp8 v[12:15], a[136:137], a[56:57], 0// 00000000D66C: D3F3000C 1A027188
	buffer_load_dwordx4 a[116:119], v72, s[84:87], 0 offen offset:1024// 00000000D674: E05C1400 80957448
	v_mfma_f32_16x16x32_fp8_fp8 v[12:15], a[138:139], a[58:59], v[12:15]// 00000000D67C: D3F3000C 1C32758A
	v_mfma_f32_16x16x32_fp8_fp8 v[12:15], a[140:141], a[60:61], v[12:15]// 00000000D684: D3F3000C 1C32798C
	ds_read_b128 a[8:11], v2 offset:14976                      // 00000000D68C: DBFE3A80 08000002
	ds_read_b128 a[12:15], v2 offset:15040                     // 00000000D694: DBFE3AC0 0C000002
	v_mfma_f32_16x16x32_fp8_fp8 v[12:15], a[142:143], a[62:63], v[12:15]// 00000000D69C: D3F3000C 1C327D8E
	v_fma_f32 v132, v8, v4, v132                               // 00000000D6A4: D1CB0084 06120908
	v_fma_f32 v133, v9, v4, v133                               // 00000000D6AC: D1CB0085 06160909
	v_fma_f32 v134, v10, v4, v134                              // 00000000D6B4: D1CB0086 061A090A
	v_fma_f32 v135, v11, v4, v135                              // 00000000D6BC: D1CB0087 061E090B
	v_mul_f32_dpp v6, v27, v38 row_newbcast:0 row_mask:0xf bank_mask:0xf// 00000000D6C4: 0A0C4CFA FF01501B
	v_mfma_f32_16x16x32_fp8_fp8 v[8:11], a[128:129], a[64:65], 0// 00000000D6CC: D3F30008 1A028180
	buffer_load_dwordx4 a[120:123], v73, s[84:87], 0 offen     // 00000000D6D4: E05C1000 80957849
	v_mfma_f32_16x16x32_fp8_fp8 v[8:11], a[130:131], a[66:67], v[8:11]// 00000000D6DC: D3F30008 1C228582
	v_mfma_f32_16x16x32_fp8_fp8 v[8:11], a[132:133], a[68:69], v[8:11]// 00000000D6E4: D3F30008 1C228984
	ds_read_b128 a[16:19], v2 offset:15488                     // 00000000D6EC: DBFE3C80 10000002
	ds_read_b128 a[20:23], v2 offset:15552                     // 00000000D6F4: DBFE3CC0 14000002
	v_mfma_f32_16x16x32_fp8_fp8 v[8:11], a[134:135], a[70:71], v[8:11]// 00000000D6FC: D3F30008 1C228D86
	v_fma_f32 v160, v12, v4, v160                              // 00000000D704: D1CB00A0 0682090C
	v_fma_f32 v161, v13, v4, v161                              // 00000000D70C: D1CB00A1 0686090D
	v_fma_f32 v162, v14, v4, v162                              // 00000000D714: D1CB00A2 068A090E
	v_fma_f32 v163, v15, v4, v163                              // 00000000D71C: D1CB00A3 068E090F
	v_mfma_f32_16x16x32_fp8_fp8 v[12:15], a[136:137], a[64:65], 0// 00000000D724: D3F3000C 1A028188
	buffer_load_dwordx4 a[124:127], v73, s[84:87], 0 offen offset:1024// 00000000D72C: E05C1400 80957C49
	v_mfma_f32_16x16x32_fp8_fp8 v[12:15], a[138:139], a[66:67], v[12:15]// 00000000D734: D3F3000C 1C32858A
	v_mfma_f32_16x16x32_fp8_fp8 v[12:15], a[140:141], a[68:69], v[12:15]// 00000000D73C: D3F3000C 1C32898C
	ds_read_b128 a[24:27], v2 offset:16000                     // 00000000D744: DBFE3E80 18000002
	ds_read_b128 a[28:31], v2 offset:16064                     // 00000000D74C: DBFE3EC0 1C000002
	v_mfma_f32_16x16x32_fp8_fp8 v[12:15], a[142:143], a[70:71], v[12:15]// 00000000D754: D3F3000C 1C328D8E
	v_fma_f32 v136, v8, v6, v136                               // 00000000D75C: D1CB0088 06220D08
	v_fma_f32 v137, v9, v6, v137                               // 00000000D764: D1CB0089 06260D09
	v_fma_f32 v138, v10, v6, v138                              // 00000000D76C: D1CB008A 062A0D0A
	v_fma_f32 v139, v11, v6, v139                              // 00000000D774: D1CB008B 062E0D0B
	v_mul_f32_dpp v4, v27, v39 row_newbcast:0 row_mask:0xf bank_mask:0xf// 00000000D77C: 0A084EFA FF01501B
	v_mfma_f32_16x16x32_fp8_fp8 v[8:11], a[128:129], a[72:73], 0// 00000000D784: D3F30008 1A029180
	v_mfma_f32_16x16x32_fp8_fp8 v[8:11], a[130:131], a[74:75], v[8:11]// 00000000D78C: D3F30008 1C229582
	v_mfma_f32_16x16x32_fp8_fp8 v[8:11], a[132:133], a[76:77], v[8:11]// 00000000D794: D3F30008 1C229984
	ds_read_b128 a[32:35], v2 offset:16512                     // 00000000D79C: DBFE4080 20000002
	ds_read_b128 a[36:39], v2 offset:16576                     // 00000000D7A4: DBFE40C0 24000002
	v_mfma_f32_16x16x32_fp8_fp8 v[8:11], a[134:135], a[78:79], v[8:11]// 00000000D7AC: D3F30008 1C229D86
	v_fma_f32 v164, v12, v6, v164                              // 00000000D7B4: D1CB00A4 06920D0C
	v_fma_f32 v165, v13, v6, v165                              // 00000000D7BC: D1CB00A5 06960D0D
	v_fma_f32 v166, v14, v6, v166                              // 00000000D7C4: D1CB00A6 069A0D0E
	v_fma_f32 v167, v15, v6, v167                              // 00000000D7CC: D1CB00A7 069E0D0F
	v_mfma_f32_16x16x32_fp8_fp8 v[12:15], a[136:137], a[72:73], 0// 00000000D7D4: D3F3000C 1A029188
	v_mfma_f32_16x16x32_fp8_fp8 v[12:15], a[138:139], a[74:75], v[12:15]// 00000000D7DC: D3F3000C 1C32958A
	v_mfma_f32_16x16x32_fp8_fp8 v[12:15], a[140:141], a[76:77], v[12:15]// 00000000D7E4: D3F3000C 1C32998C
	ds_read_b128 a[40:43], v2 offset:17024                     // 00000000D7EC: DBFE4280 28000002
	ds_read_b128 a[44:47], v2 offset:17088                     // 00000000D7F4: DBFE42C0 2C000002
	v_mfma_f32_16x16x32_fp8_fp8 v[12:15], a[142:143], a[78:79], v[12:15]// 00000000D7FC: D3F3000C 1C329D8E
	v_fma_f32 v140, v8, v4, v140                               // 00000000D804: D1CB008C 06320908
	v_fma_f32 v141, v9, v4, v141                               // 00000000D80C: D1CB008D 06360909
	v_fma_f32 v142, v10, v4, v142                              // 00000000D814: D1CB008E 063A090A
	v_fma_f32 v143, v11, v4, v143                              // 00000000D81C: D1CB008F 063E090B
	v_mul_f32_dpp v6, v27, v40 row_newbcast:0 row_mask:0xf bank_mask:0xf// 00000000D824: 0A0C50FA FF01501B
	v_mfma_f32_16x16x32_fp8_fp8 v[8:11], a[128:129], a[80:81], 0// 00000000D82C: D3F30008 1A02A180
	v_mfma_f32_16x16x32_fp8_fp8 v[8:11], a[130:131], a[82:83], v[8:11]// 00000000D834: D3F30008 1C22A582
	v_mfma_f32_16x16x32_fp8_fp8 v[8:11], a[132:133], a[84:85], v[8:11]// 00000000D83C: D3F30008 1C22A984
	ds_read_b128 a[48:51], v2 offset:17536                     // 00000000D844: DBFE4480 30000002
	ds_read_b128 a[52:55], v2 offset:17600                     // 00000000D84C: DBFE44C0 34000002
	v_mfma_f32_16x16x32_fp8_fp8 v[8:11], a[134:135], a[86:87], v[8:11]// 00000000D854: D3F30008 1C22AD86
	v_fma_f32 v168, v12, v4, v168                              // 00000000D85C: D1CB00A8 06A2090C
	v_fma_f32 v169, v13, v4, v169                              // 00000000D864: D1CB00A9 06A6090D
	v_fma_f32 v170, v14, v4, v170                              // 00000000D86C: D1CB00AA 06AA090E
	v_fma_f32 v171, v15, v4, v171                              // 00000000D874: D1CB00AB 06AE090F
	v_mfma_f32_16x16x32_fp8_fp8 v[12:15], a[136:137], a[80:81], 0// 00000000D87C: D3F3000C 1A02A188
	v_mfma_f32_16x16x32_fp8_fp8 v[12:15], a[138:139], a[82:83], v[12:15]// 00000000D884: D3F3000C 1C32A58A
	v_mfma_f32_16x16x32_fp8_fp8 v[12:15], a[140:141], a[84:85], v[12:15]// 00000000D88C: D3F3000C 1C32A98C
	v_mfma_f32_16x16x32_fp8_fp8 v[12:15], a[142:143], a[86:87], v[12:15]// 00000000D894: D3F3000C 1C32AD8E
	v_fma_f32 v144, v8, v6, v144                               // 00000000D89C: D1CB0090 06420D08
	v_fma_f32 v145, v9, v6, v145                               // 00000000D8A4: D1CB0091 06460D09
	v_fma_f32 v146, v10, v6, v146                              // 00000000D8AC: D1CB0092 064A0D0A
	v_fma_f32 v147, v11, v6, v147                              // 00000000D8B4: D1CB0093 064E0D0B
	v_mul_f32_dpp v4, v27, v41 row_newbcast:0 row_mask:0xf bank_mask:0xf// 00000000D8BC: 0A0852FA FF01501B
	v_mfma_f32_16x16x32_fp8_fp8 v[8:11], a[128:129], a[88:89], 0// 00000000D8C4: D3F30008 1A02B180
	v_mfma_f32_16x16x32_fp8_fp8 v[8:11], a[130:131], a[90:91], v[8:11]// 00000000D8CC: D3F30008 1C22B582
	v_mfma_f32_16x16x32_fp8_fp8 v[8:11], a[132:133], a[92:93], v[8:11]// 00000000D8D4: D3F30008 1C22B984
	v_mfma_f32_16x16x32_fp8_fp8 v[8:11], a[134:135], a[94:95], v[8:11]// 00000000D8DC: D3F30008 1C22BD86
	v_fma_f32 v172, v12, v6, v172                              // 00000000D8E4: D1CB00AC 06B20D0C
	v_fma_f32 v173, v13, v6, v173                              // 00000000D8EC: D1CB00AD 06B60D0D
	v_fma_f32 v174, v14, v6, v174                              // 00000000D8F4: D1CB00AE 06BA0D0E
	v_fma_f32 v175, v15, v6, v175                              // 00000000D8FC: D1CB00AF 06BE0D0F
	v_mfma_f32_16x16x32_fp8_fp8 v[12:15], a[136:137], a[88:89], 0// 00000000D904: D3F3000C 1A02B188
	v_mfma_f32_16x16x32_fp8_fp8 v[12:15], a[138:139], a[90:91], v[12:15]// 00000000D90C: D3F3000C 1C32B58A
	v_mfma_f32_16x16x32_fp8_fp8 v[12:15], a[140:141], a[92:93], v[12:15]// 00000000D914: D3F3000C 1C32B98C
	v_mfma_f32_16x16x32_fp8_fp8 v[12:15], a[142:143], a[94:95], v[12:15]// 00000000D91C: D3F3000C 1C32BD8E
	v_fma_f32 v148, v8, v4, v148                               // 00000000D924: D1CB0094 06520908
	v_fma_f32 v149, v9, v4, v149                               // 00000000D92C: D1CB0095 06560909
	v_fma_f32 v150, v10, v4, v150                              // 00000000D934: D1CB0096 065A090A
	v_fma_f32 v151, v11, v4, v151                              // 00000000D93C: D1CB0097 065E090B
	v_mul_f32_dpp v6, v27, v42 row_newbcast:0 row_mask:0xf bank_mask:0xf// 00000000D944: 0A0C54FA FF01501B
	v_mfma_f32_16x16x32_fp8_fp8 v[8:11], a[128:129], a[96:97], 0// 00000000D94C: D3F30008 1A02C180
	v_mfma_f32_16x16x32_fp8_fp8 v[8:11], a[130:131], a[98:99], v[8:11]// 00000000D954: D3F30008 1C22C582
	v_mfma_f32_16x16x32_fp8_fp8 v[8:11], a[132:133], a[100:101], v[8:11]// 00000000D95C: D3F30008 1C22C984
	v_mfma_f32_16x16x32_fp8_fp8 v[8:11], a[134:135], a[102:103], v[8:11]// 00000000D964: D3F30008 1C22CD86
	v_fma_f32 v176, v12, v4, v176                              // 00000000D96C: D1CB00B0 06C2090C
	v_fma_f32 v177, v13, v4, v177                              // 00000000D974: D1CB00B1 06C6090D
	v_fma_f32 v178, v14, v4, v178                              // 00000000D97C: D1CB00B2 06CA090E
	v_fma_f32 v179, v15, v4, v179                              // 00000000D984: D1CB00B3 06CE090F
	v_mfma_f32_16x16x32_fp8_fp8 v[12:15], a[136:137], a[96:97], 0// 00000000D98C: D3F3000C 1A02C188
	v_mfma_f32_16x16x32_fp8_fp8 v[12:15], a[138:139], a[98:99], v[12:15]// 00000000D994: D3F3000C 1C32C58A
	v_mfma_f32_16x16x32_fp8_fp8 v[12:15], a[140:141], a[100:101], v[12:15]// 00000000D99C: D3F3000C 1C32C98C
	v_mfma_f32_16x16x32_fp8_fp8 v[12:15], a[142:143], a[102:103], v[12:15]// 00000000D9A4: D3F3000C 1C32CD8E
	v_fma_f32 v152, v8, v6, v152                               // 00000000D9AC: D1CB0098 06620D08
	v_fma_f32 v153, v9, v6, v153                               // 00000000D9B4: D1CB0099 06660D09
	v_fma_f32 v154, v10, v6, v154                              // 00000000D9BC: D1CB009A 066A0D0A
	v_fma_f32 v155, v11, v6, v155                              // 00000000D9C4: D1CB009B 066E0D0B
	v_mul_f32_dpp v4, v27, v43 row_newbcast:0 row_mask:0xf bank_mask:0xf// 00000000D9CC: 0A0856FA FF01501B
	v_mfma_f32_16x16x32_fp8_fp8 v[8:11], a[128:129], a[104:105], 0// 00000000D9D4: D3F30008 1A02D180
	s_add_u32 s60, 0x180, s80                                  // 00000000D9DC: 803C50FF 00000180
	s_cmp_lt_u32 s60, s81                                      // 00000000D9E4: BF0A513C
	s_cselect_b32 s57, s57, 0                                  // 00000000D9E8: 85398039
	s_cselect_b32 s3, s3, 0                                    // 00000000D9EC: 85038003
	v_mfma_f32_16x16x32_fp8_fp8 v[8:11], a[130:131], a[106:107], v[8:11]// 00000000D9F0: D3F30008 1C22D582
	s_add_u32 s60, 0x100, s80                                  // 00000000D9F8: 803C50FF 00000100
	s_cmp_lt_u32 s60, s81                                      // 00000000DA00: BF0A513C
	s_cselect_b32 s58, s58, 0                                  // 00000000DA04: 853A803A
	v_mfma_f32_16x16x32_fp8_fp8 v[8:11], a[132:133], a[108:109], v[8:11]// 00000000DA08: D3F30008 1C22D984
	s_add_u32 s60, 0x100, s80                                  // 00000000DA10: 803C50FF 00000100
	s_cmp_lt_u32 s60, s81                                      // 00000000DA18: BF0A513C
	s_cselect_b32 s83, s83, 0                                  // 00000000DA1C: 85538053
	s_cselect_b32 s4, s4, 0                                    // 00000000DA20: 85048004
	v_mfma_f32_16x16x32_fp8_fp8 v[8:11], a[134:135], a[110:111], v[8:11]// 00000000DA24: D3F30008 1C22DD86
	s_add_u32 s24, s58, s24                                    // 00000000DA2C: 8018183A
	s_addc_u32 s25, 0, s25                                     // 00000000DA30: 82191980
	v_fma_f32 v180, v12, v6, v180                              // 00000000DA34: D1CB00B4 06D20D0C
	v_fma_f32 v181, v13, v6, v181                              // 00000000DA3C: D1CB00B5 06D60D0D
	v_fma_f32 v182, v14, v6, v182                              // 00000000DA44: D1CB00B6 06DA0D0E
	v_fma_f32 v183, v15, v6, v183                              // 00000000DA4C: D1CB00B7 06DE0D0F
	v_mfma_f32_16x16x32_fp8_fp8 v[12:15], a[136:137], a[104:105], 0// 00000000DA54: D3F3000C 1A02D188
	s_add_u32 s20, s57, s20                                    // 00000000DA5C: 80141439
	s_addc_u32 s21, 0, s21                                     // 00000000DA60: 82151580
	s_add_u32 s28, s3, s28                                     // 00000000DA64: 801C1C03
	s_addc_u32 s29, 0, s29                                     // 00000000DA68: 821D1D80
	v_mfma_f32_16x16x32_fp8_fp8 v[12:15], a[138:139], a[106:107], v[12:15]// 00000000DA6C: D3F3000C 1C32D58A
	s_add_u32 s84, s83, s84                                    // 00000000DA74: 80545453
	s_addc_u32 s85, 0, s85                                     // 00000000DA78: 82555580
	v_mfma_f32_16x16x32_fp8_fp8 v[12:15], a[140:141], a[108:109], v[12:15]// 00000000DA7C: D3F3000C 1C32D98C
	s_add_u32 s32, s4, s32                                     // 00000000DA84: 80202004
	s_addc_u32 s33, 0, s33                                     // 00000000DA88: 82212180
	v_mfma_f32_16x16x32_fp8_fp8 v[12:15], a[142:143], a[110:111], v[12:15]// 00000000DA8C: D3F3000C 1C32DD8E
	v_fma_f32 v156, v8, v4, v156                               // 00000000DA94: D1CB009C 06720908
	v_fma_f32 v157, v9, v4, v157                               // 00000000DA9C: D1CB009D 06760909
	v_fma_f32 v158, v10, v4, v158                              // 00000000DAA4: D1CB009E 067A090A
	v_fma_f32 v159, v11, v4, v159                              // 00000000DAAC: D1CB009F 067E090B
	v_fma_f32 v184, v12, v4, v184                              // 00000000DAB4: D1CB00B8 06E2090C
	v_fma_f32 v185, v13, v4, v185                              // 00000000DABC: D1CB00B9 06E6090D
	v_fma_f32 v186, v14, v4, v186                              // 00000000DAC4: D1CB00BA 06EA090E
	v_fma_f32 v187, v15, v4, v187                              // 00000000DACC: D1CB00BB 06EE090F
	s_addk_i32 s80, 0x80                                       // 00000000DAD4: B7500080
	s_cmp_lt_i32 s80, s81                                      // 00000000DAD8: BF045150
	s_cbranch_scc0 label_311A                                  // 00000000DADC: BF8404DF
	s_waitcnt vmcnt(26) lgkmcnt(0)                             // 00000000DAE0: BF8C407A
	v_mul_f32_dpp v4, v25, v44 row_newbcast:0 row_mask:0xf bank_mask:0xf// 00000000DAE4: 0A0858FA FF015019
	v_mfma_f32_16x16x32_fp8_fp8 v[8:11], a[144:145], a[0:1], 0 // 00000000DAEC: D3F30008 1A020190
	buffer_load_dword v26, v22, s[32:35], 0 offen              // 00000000DAF4: E0501000 80081A16
	buffer_load_dwordx4 a[128:131], v72, s[24:27], 0 offen     // 00000000DAFC: E05C1000 80868048
	v_mfma_f32_16x16x32_fp8_fp8 v[8:11], a[146:147], a[2:3], v[8:11]// 00000000DB04: D3F30008 1C220592
	v_mfma_f32_16x16x32_fp8_fp8 v[8:11], a[148:149], a[4:5], v[8:11]// 00000000DB0C: D3F30008 1C220994
	v_mfma_f32_16x16x32_fp8_fp8 v[8:11], a[150:151], a[6:7], v[8:11]// 00000000DB14: D3F30008 1C220D96
	v_mfma_f32_16x16x32_fp8_fp8 v[12:15], a[152:153], a[0:1], 0// 00000000DB1C: D3F3000C 1A020198
	buffer_load_dwordx4 a[132:135], v72, s[24:27], 0 offen offset:1024// 00000000DB24: E05C1400 80868448
	v_mfma_f32_16x16x32_fp8_fp8 v[12:15], a[154:155], a[2:3], v[12:15]// 00000000DB2C: D3F3000C 1C32059A
	v_mfma_f32_16x16x32_fp8_fp8 v[12:15], a[156:157], a[4:5], v[12:15]// 00000000DB34: D3F3000C 1C32099C
	v_mfma_f32_16x16x32_fp8_fp8 v[12:15], a[158:159], a[6:7], v[12:15]// 00000000DB3C: D3F3000C 1C320D9E
	v_fma_f32 v76, v8, v4, v76                                 // 00000000DB44: D1CB004C 05320908
	v_fma_f32 v77, v9, v4, v77                                 // 00000000DB4C: D1CB004D 05360909
	v_fma_f32 v78, v10, v4, v78                                // 00000000DB54: D1CB004E 053A090A
	v_fma_f32 v79, v11, v4, v79                                // 00000000DB5C: D1CB004F 053E090B
	v_mul_f32_dpp v6, v25, v45 row_newbcast:0 row_mask:0xf bank_mask:0xf// 00000000DB64: 0A0C5AFA FF015019
	v_mfma_f32_16x16x32_fp8_fp8 v[8:11], a[144:145], a[8:9], 0 // 00000000DB6C: D3F30008 1A021190
	buffer_load_dwordx4 a[136:139], v73, s[24:27], 0 offen     // 00000000DB74: E05C1000 80868849
	v_mfma_f32_16x16x32_fp8_fp8 v[8:11], a[146:147], a[10:11], v[8:11]// 00000000DB7C: D3F30008 1C221592
	v_mfma_f32_16x16x32_fp8_fp8 v[8:11], a[148:149], a[12:13], v[8:11]// 00000000DB84: D3F30008 1C221994
	v_mfma_f32_16x16x32_fp8_fp8 v[8:11], a[150:151], a[14:15], v[8:11]// 00000000DB8C: D3F30008 1C221D96
	v_fma_f32 v104, v12, v4, v104                              // 00000000DB94: D1CB0068 05A2090C
	v_fma_f32 v105, v13, v4, v105                              // 00000000DB9C: D1CB0069 05A6090D
	v_fma_f32 v106, v14, v4, v106                              // 00000000DBA4: D1CB006A 05AA090E
	v_fma_f32 v107, v15, v4, v107                              // 00000000DBAC: D1CB006B 05AE090F
	v_mfma_f32_16x16x32_fp8_fp8 v[12:15], a[152:153], a[8:9], 0// 00000000DBB4: D3F3000C 1A021198
	buffer_load_dwordx4 a[140:143], v73, s[24:27], 0 offen offset:1024// 00000000DBBC: E05C1400 80868C49
	buffer_load_dword v58, s[20:23], 0 offen lds               // 00000000DBC4: E0511000 8005003A
	s_add_u32 m0, 0x100, s48                                   // 00000000DBCC: 807C30FF 00000100
	v_mfma_f32_16x16x32_fp8_fp8 v[12:15], a[154:155], a[10:11], v[12:15]// 00000000DBD4: D3F3000C 1C32159A
	v_mfma_f32_16x16x32_fp8_fp8 v[12:15], a[156:157], a[12:13], v[12:15]// 00000000DBDC: D3F3000C 1C32199C
	buffer_load_dword v59, s[20:23], 0 offen lds               // 00000000DBE4: E0511000 8005003B
	s_add_u32 m0, 0x200, s48                                   // 00000000DBEC: 807C30FF 00000200
	v_mfma_f32_16x16x32_fp8_fp8 v[12:15], a[158:159], a[14:15], v[12:15]// 00000000DBF4: D3F3000C 1C321D9E
	v_fma_f32 v80, v8, v6, v80                                 // 00000000DBFC: D1CB0050 05420D08
	v_fma_f32 v81, v9, v6, v81                                 // 00000000DC04: D1CB0051 05460D09
	v_fma_f32 v82, v10, v6, v82                                // 00000000DC0C: D1CB0052 054A0D0A
	v_fma_f32 v83, v11, v6, v83                                // 00000000DC14: D1CB0053 054E0D0B
	v_mul_f32_dpp v4, v25, v46 row_newbcast:0 row_mask:0xf bank_mask:0xf// 00000000DC1C: 0A085CFA FF015019
	v_mfma_f32_16x16x32_fp8_fp8 v[8:11], a[144:145], a[16:17], 0// 00000000DC24: D3F30008 1A022190
	buffer_load_dword v60, s[20:23], 0 offen lds               // 00000000DC2C: E0511000 8005003C
	s_add_u32 m0, 0x300, s48                                   // 00000000DC34: 807C30FF 00000300
	v_mfma_f32_16x16x32_fp8_fp8 v[8:11], a[146:147], a[18:19], v[8:11]// 00000000DC3C: D3F30008 1C222592
	v_mfma_f32_16x16x32_fp8_fp8 v[8:11], a[148:149], a[20:21], v[8:11]// 00000000DC44: D3F30008 1C222994
	buffer_load_dword v61, s[20:23], 0 offen lds               // 00000000DC4C: E0511000 8005003D
	s_add_u32 m0, 0x400, s48                                   // 00000000DC54: 807C30FF 00000400
	v_mfma_f32_16x16x32_fp8_fp8 v[8:11], a[150:151], a[22:23], v[8:11]// 00000000DC5C: D3F30008 1C222D96
	v_fma_f32 v108, v12, v6, v108                              // 00000000DC64: D1CB006C 05B20D0C
	v_fma_f32 v109, v13, v6, v109                              // 00000000DC6C: D1CB006D 05B60D0D
	v_fma_f32 v110, v14, v6, v110                              // 00000000DC74: D1CB006E 05BA0D0E
	v_fma_f32 v111, v15, v6, v111                              // 00000000DC7C: D1CB006F 05BE0D0F
	v_mfma_f32_16x16x32_fp8_fp8 v[12:15], a[152:153], a[16:17], 0// 00000000DC84: D3F3000C 1A022198
	buffer_load_dword v62, s[20:23], 0 offen lds               // 00000000DC8C: E0511000 8005003E
	s_add_u32 m0, 0x500, s48                                   // 00000000DC94: 807C30FF 00000500
	v_mfma_f32_16x16x32_fp8_fp8 v[12:15], a[154:155], a[18:19], v[12:15]// 00000000DC9C: D3F3000C 1C32259A
	v_mfma_f32_16x16x32_fp8_fp8 v[12:15], a[156:157], a[20:21], v[12:15]// 00000000DCA4: D3F3000C 1C32299C
	buffer_load_dword v63, s[20:23], 0 offen lds               // 00000000DCAC: E0511000 8005003F
	s_add_u32 m0, 0x600, s48                                   // 00000000DCB4: 807C30FF 00000600
	v_mfma_f32_16x16x32_fp8_fp8 v[12:15], a[158:159], a[22:23], v[12:15]// 00000000DCBC: D3F3000C 1C322D9E
	v_fma_f32 v84, v8, v4, v84                                 // 00000000DCC4: D1CB0054 05520908
	v_fma_f32 v85, v9, v4, v85                                 // 00000000DCCC: D1CB0055 05560909
	v_fma_f32 v86, v10, v4, v86                                // 00000000DCD4: D1CB0056 055A090A
	v_fma_f32 v87, v11, v4, v87                                // 00000000DCDC: D1CB0057 055E090B
	v_mul_f32_dpp v6, v25, v47 row_newbcast:0 row_mask:0xf bank_mask:0xf// 00000000DCE4: 0A0C5EFA FF015019
	v_mfma_f32_16x16x32_fp8_fp8 v[8:11], a[144:145], a[24:25], 0// 00000000DCEC: D3F30008 1A023190
	buffer_load_dword v64, s[20:23], 0 offen lds               // 00000000DCF4: E0511000 80050040
	s_add_u32 m0, 0x700, s48                                   // 00000000DCFC: 807C30FF 00000700
	v_mfma_f32_16x16x32_fp8_fp8 v[8:11], a[146:147], a[26:27], v[8:11]// 00000000DD04: D3F30008 1C223592
	v_mfma_f32_16x16x32_fp8_fp8 v[8:11], a[148:149], a[28:29], v[8:11]// 00000000DD0C: D3F30008 1C223994
	buffer_load_dword v65, s[20:23], 0 offen lds               // 00000000DD14: E0511000 80050041
	s_add_u32 m0, 0x800, s48                                   // 00000000DD1C: 807C30FF 00000800
	v_mfma_f32_16x16x32_fp8_fp8 v[8:11], a[150:151], a[30:31], v[8:11]// 00000000DD24: D3F30008 1C223D96
	v_fma_f32 v112, v12, v4, v112                              // 00000000DD2C: D1CB0070 05C2090C
	v_fma_f32 v113, v13, v4, v113                              // 00000000DD34: D1CB0071 05C6090D
	v_fma_f32 v114, v14, v4, v114                              // 00000000DD3C: D1CB0072 05CA090E
	v_fma_f32 v115, v15, v4, v115                              // 00000000DD44: D1CB0073 05CE090F
	v_mfma_f32_16x16x32_fp8_fp8 v[12:15], a[152:153], a[24:25], 0// 00000000DD4C: D3F3000C 1A023198
	buffer_load_dword v66, s[20:23], 0 offen lds               // 00000000DD54: E0511000 80050042
	s_add_u32 m0, 0x900, s48                                   // 00000000DD5C: 807C30FF 00000900
	v_mfma_f32_16x16x32_fp8_fp8 v[12:15], a[154:155], a[26:27], v[12:15]// 00000000DD64: D3F3000C 1C32359A
	v_mfma_f32_16x16x32_fp8_fp8 v[12:15], a[156:157], a[28:29], v[12:15]// 00000000DD6C: D3F3000C 1C32399C
	buffer_load_dword v67, s[20:23], 0 offen lds               // 00000000DD74: E0511000 80050043
	s_add_u32 m0, 0xa00, s48                                   // 00000000DD7C: 807C30FF 00000A00
	v_mfma_f32_16x16x32_fp8_fp8 v[12:15], a[158:159], a[30:31], v[12:15]// 00000000DD84: D3F3000C 1C323D9E
	v_fma_f32 v88, v8, v6, v88                                 // 00000000DD8C: D1CB0058 05620D08
	v_fma_f32 v89, v9, v6, v89                                 // 00000000DD94: D1CB0059 05660D09
	v_fma_f32 v90, v10, v6, v90                                // 00000000DD9C: D1CB005A 056A0D0A
	v_fma_f32 v91, v11, v6, v91                                // 00000000DDA4: D1CB005B 056E0D0B
	v_mul_f32_dpp v4, v25, v48 row_newbcast:0 row_mask:0xf bank_mask:0xf// 00000000DDAC: 0A0860FA FF015019
	v_mfma_f32_16x16x32_fp8_fp8 v[8:11], a[144:145], a[32:33], 0// 00000000DDB4: D3F30008 1A024190
	buffer_load_dword v68, s[20:23], 0 offen lds               // 00000000DDBC: E0511000 80050044
	s_add_u32 m0, 0xb00, s48                                   // 00000000DDC4: 807C30FF 00000B00
	v_mfma_f32_16x16x32_fp8_fp8 v[8:11], a[146:147], a[34:35], v[8:11]// 00000000DDCC: D3F30008 1C224592
	v_mfma_f32_16x16x32_fp8_fp8 v[8:11], a[148:149], a[36:37], v[8:11]// 00000000DDD4: D3F30008 1C224994
	buffer_load_dword v69, s[20:23], 0 offen lds               // 00000000DDDC: E0511000 80050045
	s_add_u32 m0, 0xc00, s48                                   // 00000000DDE4: 807C30FF 00000C00
	v_mfma_f32_16x16x32_fp8_fp8 v[8:11], a[150:151], a[38:39], v[8:11]// 00000000DDEC: D3F30008 1C224D96
	v_fma_f32 v116, v12, v6, v116                              // 00000000DDF4: D1CB0074 05D20D0C
	v_fma_f32 v117, v13, v6, v117                              // 00000000DDFC: D1CB0075 05D60D0D
	v_fma_f32 v118, v14, v6, v118                              // 00000000DE04: D1CB0076 05DA0D0E
	v_fma_f32 v119, v15, v6, v119                              // 00000000DE0C: D1CB0077 05DE0D0F
	v_mfma_f32_16x16x32_fp8_fp8 v[12:15], a[152:153], a[32:33], 0// 00000000DE14: D3F3000C 1A024198
	buffer_load_dword v70, s[20:23], 0 offen lds               // 00000000DE1C: E0511000 80050046
	s_add_u32 m0, 0xd00, s48                                   // 00000000DE24: 807C30FF 00000D00
	v_mfma_f32_16x16x32_fp8_fp8 v[12:15], a[154:155], a[34:35], v[12:15]// 00000000DE2C: D3F3000C 1C32459A
	v_mfma_f32_16x16x32_fp8_fp8 v[12:15], a[156:157], a[36:37], v[12:15]// 00000000DE34: D3F3000C 1C32499C
	buffer_load_dword v71, s[20:23], 0 offen lds               // 00000000DE3C: E0511000 80050047
	s_add_u32 m0, 0, s49                                       // 00000000DE44: 807C3180
	v_mfma_f32_16x16x32_fp8_fp8 v[12:15], a[158:159], a[38:39], v[12:15]// 00000000DE48: D3F3000C 1C324D9E
	v_fma_f32 v92, v8, v4, v92                                 // 00000000DE50: D1CB005C 05720908
	v_fma_f32 v93, v9, v4, v93                                 // 00000000DE58: D1CB005D 05760909
	v_fma_f32 v94, v10, v4, v94                                // 00000000DE60: D1CB005E 057A090A
	v_fma_f32 v95, v11, v4, v95                                // 00000000DE68: D1CB005F 057E090B
	v_mul_f32_dpp v6, v25, v49 row_newbcast:0 row_mask:0xf bank_mask:0xf// 00000000DE70: 0A0C62FA FF015019
	v_mfma_f32_16x16x32_fp8_fp8 v[8:11], a[144:145], a[40:41], 0// 00000000DE78: D3F30008 1A025190
	buffer_load_dword v37, v30, s[28:31], 0 offen              // 00000000DE80: E0501000 8007251E
	v_mfma_f32_16x16x32_fp8_fp8 v[8:11], a[146:147], a[42:43], v[8:11]// 00000000DE88: D3F30008 1C225592
	v_mfma_f32_16x16x32_fp8_fp8 v[8:11], a[148:149], a[44:45], v[8:11]// 00000000DE90: D3F30008 1C225994
	buffer_load_dword v38, v31, s[28:31], 0 offen              // 00000000DE98: E0501000 8007261F
	v_mfma_f32_16x16x32_fp8_fp8 v[8:11], a[150:151], a[46:47], v[8:11]// 00000000DEA0: D3F30008 1C225D96
	v_fma_f32 v120, v12, v4, v120                              // 00000000DEA8: D1CB0078 05E2090C
	v_fma_f32 v121, v13, v4, v121                              // 00000000DEB0: D1CB0079 05E6090D
	v_fma_f32 v122, v14, v4, v122                              // 00000000DEB8: D1CB007A 05EA090E
	v_fma_f32 v123, v15, v4, v123                              // 00000000DEC0: D1CB007B 05EE090F
	v_mfma_f32_16x16x32_fp8_fp8 v[12:15], a[152:153], a[40:41], 0// 00000000DEC8: D3F3000C 1A025198
	buffer_load_dword v39, v32, s[28:31], 0 offen              // 00000000DED0: E0501000 80072720
	v_mfma_f32_16x16x32_fp8_fp8 v[12:15], a[154:155], a[42:43], v[12:15]// 00000000DED8: D3F3000C 1C32559A
	v_mfma_f32_16x16x32_fp8_fp8 v[12:15], a[156:157], a[44:45], v[12:15]// 00000000DEE0: D3F3000C 1C32599C
	buffer_load_dword v40, v33, s[28:31], 0 offen              // 00000000DEE8: E0501000 80072821
	v_mfma_f32_16x16x32_fp8_fp8 v[12:15], a[158:159], a[46:47], v[12:15]// 00000000DEF0: D3F3000C 1C325D9E
	v_fma_f32 v96, v8, v6, v96                                 // 00000000DEF8: D1CB0060 05820D08
	v_fma_f32 v97, v9, v6, v97                                 // 00000000DF00: D1CB0061 05860D09
	v_fma_f32 v98, v10, v6, v98                                // 00000000DF08: D1CB0062 058A0D0A
	v_fma_f32 v99, v11, v6, v99                                // 00000000DF10: D1CB0063 058E0D0B
	v_mul_f32_dpp v4, v25, v50 row_newbcast:0 row_mask:0xf bank_mask:0xf// 00000000DF18: 0A0864FA FF015019
	v_mfma_f32_16x16x32_fp8_fp8 v[8:11], a[144:145], a[48:49], 0// 00000000DF20: D3F30008 1A026190
	buffer_load_dword v41, v34, s[28:31], 0 offen              // 00000000DF28: E0501000 80072922
	v_mfma_f32_16x16x32_fp8_fp8 v[8:11], a[146:147], a[50:51], v[8:11]// 00000000DF30: D3F30008 1C226592
	v_mfma_f32_16x16x32_fp8_fp8 v[8:11], a[148:149], a[52:53], v[8:11]// 00000000DF38: D3F30008 1C226994
	buffer_load_dword v42, v35, s[28:31], 0 offen              // 00000000DF40: E0501000 80072A23
	v_mfma_f32_16x16x32_fp8_fp8 v[8:11], a[150:151], a[54:55], v[8:11]// 00000000DF48: D3F30008 1C226D96
	v_fma_f32 v124, v12, v6, v124                              // 00000000DF50: D1CB007C 05F20D0C
	v_fma_f32 v125, v13, v6, v125                              // 00000000DF58: D1CB007D 05F60D0D
	v_fma_f32 v126, v14, v6, v126                              // 00000000DF60: D1CB007E 05FA0D0E
	v_fma_f32 v127, v15, v6, v127                              // 00000000DF68: D1CB007F 05FE0D0F
	v_mfma_f32_16x16x32_fp8_fp8 v[12:15], a[152:153], a[48:49], 0// 00000000DF70: D3F3000C 1A026198
	buffer_load_dword v43, v36, s[28:31], 0 offen              // 00000000DF78: E0501000 80072B24
	v_mfma_f32_16x16x32_fp8_fp8 v[12:15], a[154:155], a[50:51], v[12:15]// 00000000DF80: D3F3000C 1C32659A
	v_mfma_f32_16x16x32_fp8_fp8 v[12:15], a[156:157], a[52:53], v[12:15]// 00000000DF88: D3F3000C 1C32699C
	v_mfma_f32_16x16x32_fp8_fp8 v[12:15], a[158:159], a[54:55], v[12:15]// 00000000DF90: D3F3000C 1C326D9E
	v_fma_f32 v100, v8, v4, v100                               // 00000000DF98: D1CB0064 05920908
	v_fma_f32 v101, v9, v4, v101                               // 00000000DFA0: D1CB0065 05960909
	v_fma_f32 v102, v10, v4, v102                              // 00000000DFA8: D1CB0066 059A090A
	v_fma_f32 v103, v11, v4, v103                              // 00000000DFB0: D1CB0067 059E090B
	v_fma_f32 v128, v12, v4, v128                              // 00000000DFB8: D1CB0080 0602090C
	v_fma_f32 v129, v13, v4, v129                              // 00000000DFC0: D1CB0081 0606090D
	v_fma_f32 v130, v14, v4, v130                              // 00000000DFC8: D1CB0082 060A090E
	v_fma_f32 v131, v15, v4, v131                              // 00000000DFD0: D1CB0083 060E090F
	s_waitcnt vmcnt(26)                                        // 00000000DFD8: BF8C4F7A
	s_barrier                                                  // 00000000DFDC: BF8A0000
	v_mul_f32_dpp v4, v28, v44 row_newbcast:0 row_mask:0xf bank_mask:0xf// 00000000DFE0: 0A0858FA FF01501C
	v_mfma_f32_16x16x32_fp8_fp8 v[8:11], a[112:113], a[0:1], 0 // 00000000DFE8: D3F30008 1A020170
	buffer_load_dword v29, v23, s[32:35], 0 offen              // 00000000DFF0: E0501000 80081D17
	buffer_load_dwordx4 a[144:147], v72, s[84:87], 0 offen     // 00000000DFF8: E05C1000 80959048
	v_mfma_f32_16x16x32_fp8_fp8 v[8:11], a[114:115], a[2:3], v[8:11]// 00000000E000: D3F30008 1C220572
	v_mfma_f32_16x16x32_fp8_fp8 v[8:11], a[116:117], a[4:5], v[8:11]// 00000000E008: D3F30008 1C220974
	ds_read_b128 a[56:59], v2 offset:28928                     // 00000000E010: DBFE7100 38000002
	ds_read_b128 a[60:63], v2 offset:28992                     // 00000000E018: DBFE7140 3C000002
	v_mfma_f32_16x16x32_fp8_fp8 v[8:11], a[118:119], a[6:7], v[8:11]// 00000000E020: D3F30008 1C220D76
	v_mfma_f32_16x16x32_fp8_fp8 v[12:15], a[120:121], a[0:1], 0// 00000000E028: D3F3000C 1A020178
	buffer_load_dwordx4 a[148:151], v72, s[84:87], 0 offen offset:1024// 00000000E030: E05C1400 80959448
	v_mfma_f32_16x16x32_fp8_fp8 v[12:15], a[122:123], a[2:3], v[12:15]// 00000000E038: D3F3000C 1C32057A
	v_mfma_f32_16x16x32_fp8_fp8 v[12:15], a[124:125], a[4:5], v[12:15]// 00000000E040: D3F3000C 1C32097C
	ds_read_b128 a[64:67], v2 offset:29440                     // 00000000E048: DBFE7300 40000002
	ds_read_b128 a[68:71], v2 offset:29504                     // 00000000E050: DBFE7340 44000002
	v_mfma_f32_16x16x32_fp8_fp8 v[12:15], a[126:127], a[6:7], v[12:15]// 00000000E058: D3F3000C 1C320D7E
	v_fma_f32 v132, v8, v4, v132                               // 00000000E060: D1CB0084 06120908
	v_fma_f32 v133, v9, v4, v133                               // 00000000E068: D1CB0085 06160909
	v_fma_f32 v134, v10, v4, v134                              // 00000000E070: D1CB0086 061A090A
	v_fma_f32 v135, v11, v4, v135                              // 00000000E078: D1CB0087 061E090B
	v_mul_f32_dpp v6, v28, v45 row_newbcast:0 row_mask:0xf bank_mask:0xf// 00000000E080: 0A0C5AFA FF01501C
	v_mfma_f32_16x16x32_fp8_fp8 v[8:11], a[112:113], a[8:9], 0 // 00000000E088: D3F30008 1A021170
	buffer_load_dwordx4 a[152:155], v73, s[84:87], 0 offen     // 00000000E090: E05C1000 80959849
	v_mfma_f32_16x16x32_fp8_fp8 v[8:11], a[114:115], a[10:11], v[8:11]// 00000000E098: D3F30008 1C221572
	v_mfma_f32_16x16x32_fp8_fp8 v[8:11], a[116:117], a[12:13], v[8:11]// 00000000E0A0: D3F30008 1C221974
	ds_read_b128 a[72:75], v2 offset:29952                     // 00000000E0A8: DBFE7500 48000002
	ds_read_b128 a[76:79], v2 offset:30016                     // 00000000E0B0: DBFE7540 4C000002
	v_mfma_f32_16x16x32_fp8_fp8 v[8:11], a[118:119], a[14:15], v[8:11]// 00000000E0B8: D3F30008 1C221D76
	v_fma_f32 v160, v12, v4, v160                              // 00000000E0C0: D1CB00A0 0682090C
	v_fma_f32 v161, v13, v4, v161                              // 00000000E0C8: D1CB00A1 0686090D
	v_fma_f32 v162, v14, v4, v162                              // 00000000E0D0: D1CB00A2 068A090E
	v_fma_f32 v163, v15, v4, v163                              // 00000000E0D8: D1CB00A3 068E090F
	v_mfma_f32_16x16x32_fp8_fp8 v[12:15], a[120:121], a[8:9], 0// 00000000E0E0: D3F3000C 1A021178
	buffer_load_dwordx4 a[156:159], v73, s[84:87], 0 offen offset:1024// 00000000E0E8: E05C1400 80959C49
	v_mfma_f32_16x16x32_fp8_fp8 v[12:15], a[122:123], a[10:11], v[12:15]// 00000000E0F0: D3F3000C 1C32157A
	v_mfma_f32_16x16x32_fp8_fp8 v[12:15], a[124:125], a[12:13], v[12:15]// 00000000E0F8: D3F3000C 1C32197C
	ds_read_b128 a[80:83], v2 offset:30464                     // 00000000E100: DBFE7700 50000002
	ds_read_b128 a[84:87], v2 offset:30528                     // 00000000E108: DBFE7740 54000002
	v_mfma_f32_16x16x32_fp8_fp8 v[12:15], a[126:127], a[14:15], v[12:15]// 00000000E110: D3F3000C 1C321D7E
	v_fma_f32 v136, v8, v6, v136                               // 00000000E118: D1CB0088 06220D08
	v_fma_f32 v137, v9, v6, v137                               // 00000000E120: D1CB0089 06260D09
	v_fma_f32 v138, v10, v6, v138                              // 00000000E128: D1CB008A 062A0D0A
	v_fma_f32 v139, v11, v6, v139                              // 00000000E130: D1CB008B 062E0D0B
	v_mul_f32_dpp v4, v28, v46 row_newbcast:0 row_mask:0xf bank_mask:0xf// 00000000E138: 0A085CFA FF01501C
	v_mfma_f32_16x16x32_fp8_fp8 v[8:11], a[112:113], a[16:17], 0// 00000000E140: D3F30008 1A022170
	v_mfma_f32_16x16x32_fp8_fp8 v[8:11], a[114:115], a[18:19], v[8:11]// 00000000E148: D3F30008 1C222572
	v_mfma_f32_16x16x32_fp8_fp8 v[8:11], a[116:117], a[20:21], v[8:11]// 00000000E150: D3F30008 1C222974
	ds_read_b128 a[88:91], v2 offset:30976                     // 00000000E158: DBFE7900 58000002
	ds_read_b128 a[92:95], v2 offset:31040                     // 00000000E160: DBFE7940 5C000002
	v_mfma_f32_16x16x32_fp8_fp8 v[8:11], a[118:119], a[22:23], v[8:11]// 00000000E168: D3F30008 1C222D76
	v_fma_f32 v164, v12, v6, v164                              // 00000000E170: D1CB00A4 06920D0C
	v_fma_f32 v165, v13, v6, v165                              // 00000000E178: D1CB00A5 06960D0D
	v_fma_f32 v166, v14, v6, v166                              // 00000000E180: D1CB00A6 069A0D0E
	v_fma_f32 v167, v15, v6, v167                              // 00000000E188: D1CB00A7 069E0D0F
	v_mfma_f32_16x16x32_fp8_fp8 v[12:15], a[120:121], a[16:17], 0// 00000000E190: D3F3000C 1A022178
	v_mfma_f32_16x16x32_fp8_fp8 v[12:15], a[122:123], a[18:19], v[12:15]// 00000000E198: D3F3000C 1C32257A
	v_mfma_f32_16x16x32_fp8_fp8 v[12:15], a[124:125], a[20:21], v[12:15]// 00000000E1A0: D3F3000C 1C32297C
	ds_read_b128 a[96:99], v2 offset:31488                     // 00000000E1A8: DBFE7B00 60000002
	ds_read_b128 a[100:103], v2 offset:31552                   // 00000000E1B0: DBFE7B40 64000002
	v_mfma_f32_16x16x32_fp8_fp8 v[12:15], a[126:127], a[22:23], v[12:15]// 00000000E1B8: D3F3000C 1C322D7E
	v_fma_f32 v140, v8, v4, v140                               // 00000000E1C0: D1CB008C 06320908
	v_fma_f32 v141, v9, v4, v141                               // 00000000E1C8: D1CB008D 06360909
	v_fma_f32 v142, v10, v4, v142                              // 00000000E1D0: D1CB008E 063A090A
	v_fma_f32 v143, v11, v4, v143                              // 00000000E1D8: D1CB008F 063E090B
	v_mul_f32_dpp v6, v28, v47 row_newbcast:0 row_mask:0xf bank_mask:0xf// 00000000E1E0: 0A0C5EFA FF01501C
	v_mfma_f32_16x16x32_fp8_fp8 v[8:11], a[112:113], a[24:25], 0// 00000000E1E8: D3F30008 1A023170
	v_mfma_f32_16x16x32_fp8_fp8 v[8:11], a[114:115], a[26:27], v[8:11]// 00000000E1F0: D3F30008 1C223572
	v_mfma_f32_16x16x32_fp8_fp8 v[8:11], a[116:117], a[28:29], v[8:11]// 00000000E1F8: D3F30008 1C223974
	ds_read_b128 a[104:107], v2 offset:32000                   // 00000000E200: DBFE7D00 68000002
	ds_read_b128 a[108:111], v2 offset:32064                   // 00000000E208: DBFE7D40 6C000002
	v_mfma_f32_16x16x32_fp8_fp8 v[8:11], a[118:119], a[30:31], v[8:11]// 00000000E210: D3F30008 1C223D76
	v_fma_f32 v168, v12, v4, v168                              // 00000000E218: D1CB00A8 06A2090C
	v_fma_f32 v169, v13, v4, v169                              // 00000000E220: D1CB00A9 06A6090D
	v_fma_f32 v170, v14, v4, v170                              // 00000000E228: D1CB00AA 06AA090E
	v_fma_f32 v171, v15, v4, v171                              // 00000000E230: D1CB00AB 06AE090F
	v_mfma_f32_16x16x32_fp8_fp8 v[12:15], a[120:121], a[24:25], 0// 00000000E238: D3F3000C 1A023178
	v_mfma_f32_16x16x32_fp8_fp8 v[12:15], a[122:123], a[26:27], v[12:15]// 00000000E240: D3F3000C 1C32357A
	v_mfma_f32_16x16x32_fp8_fp8 v[12:15], a[124:125], a[28:29], v[12:15]// 00000000E248: D3F3000C 1C32397C
	v_mfma_f32_16x16x32_fp8_fp8 v[12:15], a[126:127], a[30:31], v[12:15]// 00000000E250: D3F3000C 1C323D7E
	v_fma_f32 v144, v8, v6, v144                               // 00000000E258: D1CB0090 06420D08
	v_fma_f32 v145, v9, v6, v145                               // 00000000E260: D1CB0091 06460D09
	v_fma_f32 v146, v10, v6, v146                              // 00000000E268: D1CB0092 064A0D0A
	v_fma_f32 v147, v11, v6, v147                              // 00000000E270: D1CB0093 064E0D0B
	v_mul_f32_dpp v4, v28, v48 row_newbcast:0 row_mask:0xf bank_mask:0xf// 00000000E278: 0A0860FA FF01501C
	v_mfma_f32_16x16x32_fp8_fp8 v[8:11], a[112:113], a[32:33], 0// 00000000E280: D3F30008 1A024170
	v_mfma_f32_16x16x32_fp8_fp8 v[8:11], a[114:115], a[34:35], v[8:11]// 00000000E288: D3F30008 1C224572
	v_mfma_f32_16x16x32_fp8_fp8 v[8:11], a[116:117], a[36:37], v[8:11]// 00000000E290: D3F30008 1C224974
	v_mfma_f32_16x16x32_fp8_fp8 v[8:11], a[118:119], a[38:39], v[8:11]// 00000000E298: D3F30008 1C224D76
	v_fma_f32 v172, v12, v6, v172                              // 00000000E2A0: D1CB00AC 06B20D0C
	v_fma_f32 v173, v13, v6, v173                              // 00000000E2A8: D1CB00AD 06B60D0D
	v_fma_f32 v174, v14, v6, v174                              // 00000000E2B0: D1CB00AE 06BA0D0E
	v_fma_f32 v175, v15, v6, v175                              // 00000000E2B8: D1CB00AF 06BE0D0F
	v_mfma_f32_16x16x32_fp8_fp8 v[12:15], a[120:121], a[32:33], 0// 00000000E2C0: D3F3000C 1A024178
	v_mfma_f32_16x16x32_fp8_fp8 v[12:15], a[122:123], a[34:35], v[12:15]// 00000000E2C8: D3F3000C 1C32457A
	v_mfma_f32_16x16x32_fp8_fp8 v[12:15], a[124:125], a[36:37], v[12:15]// 00000000E2D0: D3F3000C 1C32497C
	v_mfma_f32_16x16x32_fp8_fp8 v[12:15], a[126:127], a[38:39], v[12:15]// 00000000E2D8: D3F3000C 1C324D7E
	v_fma_f32 v148, v8, v4, v148                               // 00000000E2E0: D1CB0094 06520908
	v_fma_f32 v149, v9, v4, v149                               // 00000000E2E8: D1CB0095 06560909
	v_fma_f32 v150, v10, v4, v150                              // 00000000E2F0: D1CB0096 065A090A
	v_fma_f32 v151, v11, v4, v151                              // 00000000E2F8: D1CB0097 065E090B
	v_mul_f32_dpp v6, v28, v49 row_newbcast:0 row_mask:0xf bank_mask:0xf// 00000000E300: 0A0C62FA FF01501C
	v_mfma_f32_16x16x32_fp8_fp8 v[8:11], a[112:113], a[40:41], 0// 00000000E308: D3F30008 1A025170
	v_mfma_f32_16x16x32_fp8_fp8 v[8:11], a[114:115], a[42:43], v[8:11]// 00000000E310: D3F30008 1C225572
	v_mfma_f32_16x16x32_fp8_fp8 v[8:11], a[116:117], a[44:45], v[8:11]// 00000000E318: D3F30008 1C225974
	v_mfma_f32_16x16x32_fp8_fp8 v[8:11], a[118:119], a[46:47], v[8:11]// 00000000E320: D3F30008 1C225D76
	v_fma_f32 v176, v12, v4, v176                              // 00000000E328: D1CB00B0 06C2090C
	v_fma_f32 v177, v13, v4, v177                              // 00000000E330: D1CB00B1 06C6090D
	v_fma_f32 v178, v14, v4, v178                              // 00000000E338: D1CB00B2 06CA090E
	v_fma_f32 v179, v15, v4, v179                              // 00000000E340: D1CB00B3 06CE090F
	v_mfma_f32_16x16x32_fp8_fp8 v[12:15], a[120:121], a[40:41], 0// 00000000E348: D3F3000C 1A025178
	v_mfma_f32_16x16x32_fp8_fp8 v[12:15], a[122:123], a[42:43], v[12:15]// 00000000E350: D3F3000C 1C32557A
	v_mfma_f32_16x16x32_fp8_fp8 v[12:15], a[124:125], a[44:45], v[12:15]// 00000000E358: D3F3000C 1C32597C
	v_mfma_f32_16x16x32_fp8_fp8 v[12:15], a[126:127], a[46:47], v[12:15]// 00000000E360: D3F3000C 1C325D7E
	v_fma_f32 v152, v8, v6, v152                               // 00000000E368: D1CB0098 06620D08
	v_fma_f32 v153, v9, v6, v153                               // 00000000E370: D1CB0099 06660D09
	v_fma_f32 v154, v10, v6, v154                              // 00000000E378: D1CB009A 066A0D0A
	v_fma_f32 v155, v11, v6, v155                              // 00000000E380: D1CB009B 066E0D0B
	v_mul_f32_dpp v4, v28, v50 row_newbcast:0 row_mask:0xf bank_mask:0xf// 00000000E388: 0A0864FA FF01501C
	v_mfma_f32_16x16x32_fp8_fp8 v[8:11], a[112:113], a[48:49], 0// 00000000E390: D3F30008 1A026170
	s_add_u32 s60, 0x180, s80                                  // 00000000E398: 803C50FF 00000180
	s_cmp_lt_u32 s60, s81                                      // 00000000E3A0: BF0A513C
	s_cselect_b32 s57, s57, 0                                  // 00000000E3A4: 85398039
	s_cselect_b32 s3, s3, 0                                    // 00000000E3A8: 85038003
	v_mfma_f32_16x16x32_fp8_fp8 v[8:11], a[114:115], a[50:51], v[8:11]// 00000000E3AC: D3F30008 1C226572
	s_add_u32 s60, 0x100, s80                                  // 00000000E3B4: 803C50FF 00000100
	s_cmp_lt_u32 s60, s81                                      // 00000000E3BC: BF0A513C
	s_cselect_b32 s58, s58, 0                                  // 00000000E3C0: 853A803A
	v_mfma_f32_16x16x32_fp8_fp8 v[8:11], a[116:117], a[52:53], v[8:11]// 00000000E3C4: D3F30008 1C226974
	s_add_u32 s60, 0x100, s80                                  // 00000000E3CC: 803C50FF 00000100
	s_cmp_lt_u32 s60, s81                                      // 00000000E3D4: BF0A513C
	s_cselect_b32 s83, s83, 0                                  // 00000000E3D8: 85538053
	s_cselect_b32 s4, s4, 0                                    // 00000000E3DC: 85048004
	v_mfma_f32_16x16x32_fp8_fp8 v[8:11], a[118:119], a[54:55], v[8:11]// 00000000E3E0: D3F30008 1C226D76
	s_add_u32 s24, s58, s24                                    // 00000000E3E8: 8018183A
	s_addc_u32 s25, 0, s25                                     // 00000000E3EC: 82191980
	v_fma_f32 v180, v12, v6, v180                              // 00000000E3F0: D1CB00B4 06D20D0C
	v_fma_f32 v181, v13, v6, v181                              // 00000000E3F8: D1CB00B5 06D60D0D
	v_fma_f32 v182, v14, v6, v182                              // 00000000E400: D1CB00B6 06DA0D0E
	v_fma_f32 v183, v15, v6, v183                              // 00000000E408: D1CB00B7 06DE0D0F
	v_mfma_f32_16x16x32_fp8_fp8 v[12:15], a[120:121], a[48:49], 0// 00000000E410: D3F3000C 1A026178
	s_add_u32 s20, s57, s20                                    // 00000000E418: 80141439
	s_addc_u32 s21, 0, s21                                     // 00000000E41C: 82151580
	s_add_u32 s28, s3, s28                                     // 00000000E420: 801C1C03
	s_addc_u32 s29, 0, s29                                     // 00000000E424: 821D1D80
	v_mfma_f32_16x16x32_fp8_fp8 v[12:15], a[122:123], a[50:51], v[12:15]// 00000000E428: D3F3000C 1C32657A
	s_add_u32 s84, s83, s84                                    // 00000000E430: 80545453
	s_addc_u32 s85, 0, s85                                     // 00000000E434: 82555580
	v_mfma_f32_16x16x32_fp8_fp8 v[12:15], a[124:125], a[52:53], v[12:15]// 00000000E438: D3F3000C 1C32697C
	s_add_u32 s32, s4, s32                                     // 00000000E440: 80202004
	s_addc_u32 s33, 0, s33                                     // 00000000E444: 82212180
	v_mfma_f32_16x16x32_fp8_fp8 v[12:15], a[126:127], a[54:55], v[12:15]// 00000000E448: D3F3000C 1C326D7E
	v_fma_f32 v156, v8, v4, v156                               // 00000000E450: D1CB009C 06720908
	v_fma_f32 v157, v9, v4, v157                               // 00000000E458: D1CB009D 06760909
	v_fma_f32 v158, v10, v4, v158                              // 00000000E460: D1CB009E 067A090A
	v_fma_f32 v159, v11, v4, v159                              // 00000000E468: D1CB009F 067E090B
	v_fma_f32 v184, v12, v4, v184                              // 00000000E470: D1CB00B8 06E2090C
	v_fma_f32 v185, v13, v4, v185                              // 00000000E478: D1CB00B9 06E6090D
	v_fma_f32 v186, v14, v4, v186                              // 00000000E480: D1CB00BA 06EA090E
	v_fma_f32 v187, v15, v4, v187                              // 00000000E488: D1CB00BB 06EE090F
	s_addk_i32 s80, 0x80                                       // 00000000E490: B7500080
	s_cmp_lt_i32 s80, s81                                      // 00000000E494: BF045150
	s_cbranch_scc0 label_311A                                  // 00000000E498: BF840270
	s_waitcnt vmcnt(26) lgkmcnt(0)                             // 00000000E49C: BF8C407A
	v_mul_f32_dpp v4, v26, v51 row_newbcast:0 row_mask:0xf bank_mask:0xf// 00000000E4A0: 0A0866FA FF01501A
	v_mfma_f32_16x16x32_fp8_fp8 v[8:11], a[128:129], a[56:57], 0// 00000000E4A8: D3F30008 1A027180
	buffer_load_dword v24, v22, s[32:35], 0 offen              // 00000000E4B0: E0501000 80081816
	buffer_load_dwordx4 a[112:115], v72, s[24:27], 0 offen     // 00000000E4B8: E05C1000 80867048
	v_mfma_f32_16x16x32_fp8_fp8 v[8:11], a[130:131], a[58:59], v[8:11]// 00000000E4C0: D3F30008 1C227582
	v_mfma_f32_16x16x32_fp8_fp8 v[8:11], a[132:133], a[60:61], v[8:11]// 00000000E4C8: D3F30008 1C227984
	v_mfma_f32_16x16x32_fp8_fp8 v[8:11], a[134:135], a[62:63], v[8:11]// 00000000E4D0: D3F30008 1C227D86
	v_mfma_f32_16x16x32_fp8_fp8 v[12:15], a[136:137], a[56:57], 0// 00000000E4D8: D3F3000C 1A027188
	buffer_load_dwordx4 a[116:119], v72, s[24:27], 0 offen offset:1024// 00000000E4E0: E05C1400 80867448
	v_mfma_f32_16x16x32_fp8_fp8 v[12:15], a[138:139], a[58:59], v[12:15]// 00000000E4E8: D3F3000C 1C32758A
	v_mfma_f32_16x16x32_fp8_fp8 v[12:15], a[140:141], a[60:61], v[12:15]// 00000000E4F0: D3F3000C 1C32798C
	v_mfma_f32_16x16x32_fp8_fp8 v[12:15], a[142:143], a[62:63], v[12:15]// 00000000E4F8: D3F3000C 1C327D8E
	v_fma_f32 v76, v8, v4, v76                                 // 00000000E500: D1CB004C 05320908
	v_fma_f32 v77, v9, v4, v77                                 // 00000000E508: D1CB004D 05360909
	v_fma_f32 v78, v10, v4, v78                                // 00000000E510: D1CB004E 053A090A
	v_fma_f32 v79, v11, v4, v79                                // 00000000E518: D1CB004F 053E090B
	v_mul_f32_dpp v6, v26, v52 row_newbcast:0 row_mask:0xf bank_mask:0xf// 00000000E520: 0A0C68FA FF01501A
	v_mfma_f32_16x16x32_fp8_fp8 v[8:11], a[128:129], a[64:65], 0// 00000000E528: D3F30008 1A028180
	buffer_load_dwordx4 a[120:123], v73, s[24:27], 0 offen     // 00000000E530: E05C1000 80867849
	v_mfma_f32_16x16x32_fp8_fp8 v[8:11], a[130:131], a[66:67], v[8:11]// 00000000E538: D3F30008 1C228582
	v_mfma_f32_16x16x32_fp8_fp8 v[8:11], a[132:133], a[68:69], v[8:11]// 00000000E540: D3F30008 1C228984
	v_mfma_f32_16x16x32_fp8_fp8 v[8:11], a[134:135], a[70:71], v[8:11]// 00000000E548: D3F30008 1C228D86
	v_fma_f32 v104, v12, v4, v104                              // 00000000E550: D1CB0068 05A2090C
	v_fma_f32 v105, v13, v4, v105                              // 00000000E558: D1CB0069 05A6090D
	v_fma_f32 v106, v14, v4, v106                              // 00000000E560: D1CB006A 05AA090E
	v_fma_f32 v107, v15, v4, v107                              // 00000000E568: D1CB006B 05AE090F
	v_mfma_f32_16x16x32_fp8_fp8 v[12:15], a[136:137], a[64:65], 0// 00000000E570: D3F3000C 1A028188
	buffer_load_dwordx4 a[124:127], v73, s[24:27], 0 offen offset:1024// 00000000E578: E05C1400 80867C49
	buffer_load_dword v58, s[20:23], 0 offen lds               // 00000000E580: E0511000 8005003A
	s_add_u32 m0, 0x100, s49                                   // 00000000E588: 807C31FF 00000100
	v_mfma_f32_16x16x32_fp8_fp8 v[12:15], a[138:139], a[66:67], v[12:15]// 00000000E590: D3F3000C 1C32858A
	v_mfma_f32_16x16x32_fp8_fp8 v[12:15], a[140:141], a[68:69], v[12:15]// 00000000E598: D3F3000C 1C32898C
	buffer_load_dword v59, s[20:23], 0 offen lds               // 00000000E5A0: E0511000 8005003B
	s_add_u32 m0, 0x200, s49                                   // 00000000E5A8: 807C31FF 00000200
	v_mfma_f32_16x16x32_fp8_fp8 v[12:15], a[142:143], a[70:71], v[12:15]// 00000000E5B0: D3F3000C 1C328D8E
	v_fma_f32 v80, v8, v6, v80                                 // 00000000E5B8: D1CB0050 05420D08
	v_fma_f32 v81, v9, v6, v81                                 // 00000000E5C0: D1CB0051 05460D09
	v_fma_f32 v82, v10, v6, v82                                // 00000000E5C8: D1CB0052 054A0D0A
	v_fma_f32 v83, v11, v6, v83                                // 00000000E5D0: D1CB0053 054E0D0B
	v_mul_f32_dpp v4, v26, v53 row_newbcast:0 row_mask:0xf bank_mask:0xf// 00000000E5D8: 0A086AFA FF01501A
	v_mfma_f32_16x16x32_fp8_fp8 v[8:11], a[128:129], a[72:73], 0// 00000000E5E0: D3F30008 1A029180
	buffer_load_dword v60, s[20:23], 0 offen lds               // 00000000E5E8: E0511000 8005003C
	s_add_u32 m0, 0x300, s49                                   // 00000000E5F0: 807C31FF 00000300
	v_mfma_f32_16x16x32_fp8_fp8 v[8:11], a[130:131], a[74:75], v[8:11]// 00000000E5F8: D3F30008 1C229582
	v_mfma_f32_16x16x32_fp8_fp8 v[8:11], a[132:133], a[76:77], v[8:11]// 00000000E600: D3F30008 1C229984
	buffer_load_dword v61, s[20:23], 0 offen lds               // 00000000E608: E0511000 8005003D
	s_add_u32 m0, 0x400, s49                                   // 00000000E610: 807C31FF 00000400
	v_mfma_f32_16x16x32_fp8_fp8 v[8:11], a[134:135], a[78:79], v[8:11]// 00000000E618: D3F30008 1C229D86
	v_fma_f32 v108, v12, v6, v108                              // 00000000E620: D1CB006C 05B20D0C
	v_fma_f32 v109, v13, v6, v109                              // 00000000E628: D1CB006D 05B60D0D
	v_fma_f32 v110, v14, v6, v110                              // 00000000E630: D1CB006E 05BA0D0E
	v_fma_f32 v111, v15, v6, v111                              // 00000000E638: D1CB006F 05BE0D0F
	v_mfma_f32_16x16x32_fp8_fp8 v[12:15], a[136:137], a[72:73], 0// 00000000E640: D3F3000C 1A029188
	buffer_load_dword v62, s[20:23], 0 offen lds               // 00000000E648: E0511000 8005003E
	s_add_u32 m0, 0x500, s49                                   // 00000000E650: 807C31FF 00000500
	v_mfma_f32_16x16x32_fp8_fp8 v[12:15], a[138:139], a[74:75], v[12:15]// 00000000E658: D3F3000C 1C32958A
	v_mfma_f32_16x16x32_fp8_fp8 v[12:15], a[140:141], a[76:77], v[12:15]// 00000000E660: D3F3000C 1C32998C
	buffer_load_dword v63, s[20:23], 0 offen lds               // 00000000E668: E0511000 8005003F
	s_add_u32 m0, 0x600, s49                                   // 00000000E670: 807C31FF 00000600
	v_mfma_f32_16x16x32_fp8_fp8 v[12:15], a[142:143], a[78:79], v[12:15]// 00000000E678: D3F3000C 1C329D8E
	v_fma_f32 v84, v8, v4, v84                                 // 00000000E680: D1CB0054 05520908
	v_fma_f32 v85, v9, v4, v85                                 // 00000000E688: D1CB0055 05560909
	v_fma_f32 v86, v10, v4, v86                                // 00000000E690: D1CB0056 055A090A
	v_fma_f32 v87, v11, v4, v87                                // 00000000E698: D1CB0057 055E090B
	v_mul_f32_dpp v6, v26, v54 row_newbcast:0 row_mask:0xf bank_mask:0xf// 00000000E6A0: 0A0C6CFA FF01501A
	v_mfma_f32_16x16x32_fp8_fp8 v[8:11], a[128:129], a[80:81], 0// 00000000E6A8: D3F30008 1A02A180
	buffer_load_dword v64, s[20:23], 0 offen lds               // 00000000E6B0: E0511000 80050040
	s_add_u32 m0, 0x700, s49                                   // 00000000E6B8: 807C31FF 00000700
	v_mfma_f32_16x16x32_fp8_fp8 v[8:11], a[130:131], a[82:83], v[8:11]// 00000000E6C0: D3F30008 1C22A582
	v_mfma_f32_16x16x32_fp8_fp8 v[8:11], a[132:133], a[84:85], v[8:11]// 00000000E6C8: D3F30008 1C22A984
	buffer_load_dword v65, s[20:23], 0 offen lds               // 00000000E6D0: E0511000 80050041
	s_add_u32 m0, 0x800, s49                                   // 00000000E6D8: 807C31FF 00000800
	v_mfma_f32_16x16x32_fp8_fp8 v[8:11], a[134:135], a[86:87], v[8:11]// 00000000E6E0: D3F30008 1C22AD86
	v_fma_f32 v112, v12, v4, v112                              // 00000000E6E8: D1CB0070 05C2090C
	v_fma_f32 v113, v13, v4, v113                              // 00000000E6F0: D1CB0071 05C6090D
	v_fma_f32 v114, v14, v4, v114                              // 00000000E6F8: D1CB0072 05CA090E
	v_fma_f32 v115, v15, v4, v115                              // 00000000E700: D1CB0073 05CE090F
	v_mfma_f32_16x16x32_fp8_fp8 v[12:15], a[136:137], a[80:81], 0// 00000000E708: D3F3000C 1A02A188
	buffer_load_dword v66, s[20:23], 0 offen lds               // 00000000E710: E0511000 80050042
	s_add_u32 m0, 0x900, s49                                   // 00000000E718: 807C31FF 00000900
	v_mfma_f32_16x16x32_fp8_fp8 v[12:15], a[138:139], a[82:83], v[12:15]// 00000000E720: D3F3000C 1C32A58A
	v_mfma_f32_16x16x32_fp8_fp8 v[12:15], a[140:141], a[84:85], v[12:15]// 00000000E728: D3F3000C 1C32A98C
	buffer_load_dword v67, s[20:23], 0 offen lds               // 00000000E730: E0511000 80050043
	s_add_u32 m0, 0xa00, s49                                   // 00000000E738: 807C31FF 00000A00
	v_mfma_f32_16x16x32_fp8_fp8 v[12:15], a[142:143], a[86:87], v[12:15]// 00000000E740: D3F3000C 1C32AD8E
	v_fma_f32 v88, v8, v6, v88                                 // 00000000E748: D1CB0058 05620D08
	v_fma_f32 v89, v9, v6, v89                                 // 00000000E750: D1CB0059 05660D09
	v_fma_f32 v90, v10, v6, v90                                // 00000000E758: D1CB005A 056A0D0A
	v_fma_f32 v91, v11, v6, v91                                // 00000000E760: D1CB005B 056E0D0B
	v_mul_f32_dpp v4, v26, v55 row_newbcast:0 row_mask:0xf bank_mask:0xf// 00000000E768: 0A086EFA FF01501A
	v_mfma_f32_16x16x32_fp8_fp8 v[8:11], a[128:129], a[88:89], 0// 00000000E770: D3F30008 1A02B180
	buffer_load_dword v68, s[20:23], 0 offen lds               // 00000000E778: E0511000 80050044
	s_add_u32 m0, 0xb00, s49                                   // 00000000E780: 807C31FF 00000B00
	v_mfma_f32_16x16x32_fp8_fp8 v[8:11], a[130:131], a[90:91], v[8:11]// 00000000E788: D3F30008 1C22B582
	v_mfma_f32_16x16x32_fp8_fp8 v[8:11], a[132:133], a[92:93], v[8:11]// 00000000E790: D3F30008 1C22B984
	buffer_load_dword v69, s[20:23], 0 offen lds               // 00000000E798: E0511000 80050045
	s_add_u32 m0, 0xc00, s49                                   // 00000000E7A0: 807C31FF 00000C00
	v_mfma_f32_16x16x32_fp8_fp8 v[8:11], a[134:135], a[94:95], v[8:11]// 00000000E7A8: D3F30008 1C22BD86
	v_fma_f32 v116, v12, v6, v116                              // 00000000E7B0: D1CB0074 05D20D0C
	v_fma_f32 v117, v13, v6, v117                              // 00000000E7B8: D1CB0075 05D60D0D
	v_fma_f32 v118, v14, v6, v118                              // 00000000E7C0: D1CB0076 05DA0D0E
	v_fma_f32 v119, v15, v6, v119                              // 00000000E7C8: D1CB0077 05DE0D0F
	v_mfma_f32_16x16x32_fp8_fp8 v[12:15], a[136:137], a[88:89], 0// 00000000E7D0: D3F3000C 1A02B188
	buffer_load_dword v70, s[20:23], 0 offen lds               // 00000000E7D8: E0511000 80050046
	s_add_u32 m0, 0xd00, s49                                   // 00000000E7E0: 807C31FF 00000D00
	v_mfma_f32_16x16x32_fp8_fp8 v[12:15], a[138:139], a[90:91], v[12:15]// 00000000E7E8: D3F3000C 1C32B58A
	v_mfma_f32_16x16x32_fp8_fp8 v[12:15], a[140:141], a[92:93], v[12:15]// 00000000E7F0: D3F3000C 1C32B98C
	buffer_load_dword v71, s[20:23], 0 offen lds               // 00000000E7F8: E0511000 80050047
	s_add_u32 m0, 0, s50                                       // 00000000E800: 807C3280
	v_mfma_f32_16x16x32_fp8_fp8 v[12:15], a[142:143], a[94:95], v[12:15]// 00000000E804: D3F3000C 1C32BD8E
	v_fma_f32 v92, v8, v4, v92                                 // 00000000E80C: D1CB005C 05720908
	v_fma_f32 v93, v9, v4, v93                                 // 00000000E814: D1CB005D 05760909
	v_fma_f32 v94, v10, v4, v94                                // 00000000E81C: D1CB005E 057A090A
	v_fma_f32 v95, v11, v4, v95                                // 00000000E824: D1CB005F 057E090B
	v_mul_f32_dpp v6, v26, v56 row_newbcast:0 row_mask:0xf bank_mask:0xf// 00000000E82C: 0A0C70FA FF01501A
	v_mfma_f32_16x16x32_fp8_fp8 v[8:11], a[128:129], a[96:97], 0// 00000000E834: D3F30008 1A02C180
	buffer_load_dword v44, v30, s[28:31], 0 offen              // 00000000E83C: E0501000 80072C1E
	v_mfma_f32_16x16x32_fp8_fp8 v[8:11], a[130:131], a[98:99], v[8:11]// 00000000E844: D3F30008 1C22C582
	v_mfma_f32_16x16x32_fp8_fp8 v[8:11], a[132:133], a[100:101], v[8:11]// 00000000E84C: D3F30008 1C22C984
	buffer_load_dword v45, v31, s[28:31], 0 offen              // 00000000E854: E0501000 80072D1F
	v_mfma_f32_16x16x32_fp8_fp8 v[8:11], a[134:135], a[102:103], v[8:11]// 00000000E85C: D3F30008 1C22CD86
	v_fma_f32 v120, v12, v4, v120                              // 00000000E864: D1CB0078 05E2090C
	v_fma_f32 v121, v13, v4, v121                              // 00000000E86C: D1CB0079 05E6090D
	v_fma_f32 v122, v14, v4, v122                              // 00000000E874: D1CB007A 05EA090E
	v_fma_f32 v123, v15, v4, v123                              // 00000000E87C: D1CB007B 05EE090F
	v_mfma_f32_16x16x32_fp8_fp8 v[12:15], a[136:137], a[96:97], 0// 00000000E884: D3F3000C 1A02C188
	buffer_load_dword v46, v32, s[28:31], 0 offen              // 00000000E88C: E0501000 80072E20
	v_mfma_f32_16x16x32_fp8_fp8 v[12:15], a[138:139], a[98:99], v[12:15]// 00000000E894: D3F3000C 1C32C58A
	v_mfma_f32_16x16x32_fp8_fp8 v[12:15], a[140:141], a[100:101], v[12:15]// 00000000E89C: D3F3000C 1C32C98C
	buffer_load_dword v47, v33, s[28:31], 0 offen              // 00000000E8A4: E0501000 80072F21
	v_mfma_f32_16x16x32_fp8_fp8 v[12:15], a[142:143], a[102:103], v[12:15]// 00000000E8AC: D3F3000C 1C32CD8E
	v_fma_f32 v96, v8, v6, v96                                 // 00000000E8B4: D1CB0060 05820D08
	v_fma_f32 v97, v9, v6, v97                                 // 00000000E8BC: D1CB0061 05860D09
	v_fma_f32 v98, v10, v6, v98                                // 00000000E8C4: D1CB0062 058A0D0A
	v_fma_f32 v99, v11, v6, v99                                // 00000000E8CC: D1CB0063 058E0D0B
	v_mul_f32_dpp v4, v26, v57 row_newbcast:0 row_mask:0xf bank_mask:0xf// 00000000E8D4: 0A0872FA FF01501A
	v_mfma_f32_16x16x32_fp8_fp8 v[8:11], a[128:129], a[104:105], 0// 00000000E8DC: D3F30008 1A02D180
	buffer_load_dword v48, v34, s[28:31], 0 offen              // 00000000E8E4: E0501000 80073022
	v_mfma_f32_16x16x32_fp8_fp8 v[8:11], a[130:131], a[106:107], v[8:11]// 00000000E8EC: D3F30008 1C22D582
	v_mfma_f32_16x16x32_fp8_fp8 v[8:11], a[132:133], a[108:109], v[8:11]// 00000000E8F4: D3F30008 1C22D984
	buffer_load_dword v49, v35, s[28:31], 0 offen              // 00000000E8FC: E0501000 80073123
	v_mfma_f32_16x16x32_fp8_fp8 v[8:11], a[134:135], a[110:111], v[8:11]// 00000000E904: D3F30008 1C22DD86
	v_fma_f32 v124, v12, v6, v124                              // 00000000E90C: D1CB007C 05F20D0C
	v_fma_f32 v125, v13, v6, v125                              // 00000000E914: D1CB007D 05F60D0D
	v_fma_f32 v126, v14, v6, v126                              // 00000000E91C: D1CB007E 05FA0D0E
	v_fma_f32 v127, v15, v6, v127                              // 00000000E924: D1CB007F 05FE0D0F
	v_mfma_f32_16x16x32_fp8_fp8 v[12:15], a[136:137], a[104:105], 0// 00000000E92C: D3F3000C 1A02D188
	buffer_load_dword v50, v36, s[28:31], 0 offen              // 00000000E934: E0501000 80073224
	v_mfma_f32_16x16x32_fp8_fp8 v[12:15], a[138:139], a[106:107], v[12:15]// 00000000E93C: D3F3000C 1C32D58A
	v_mfma_f32_16x16x32_fp8_fp8 v[12:15], a[140:141], a[108:109], v[12:15]// 00000000E944: D3F3000C 1C32D98C
	v_mfma_f32_16x16x32_fp8_fp8 v[12:15], a[142:143], a[110:111], v[12:15]// 00000000E94C: D3F3000C 1C32DD8E
	v_fma_f32 v100, v8, v4, v100                               // 00000000E954: D1CB0064 05920908
	v_fma_f32 v101, v9, v4, v101                               // 00000000E95C: D1CB0065 05960909
	v_fma_f32 v102, v10, v4, v102                              // 00000000E964: D1CB0066 059A090A
	v_fma_f32 v103, v11, v4, v103                              // 00000000E96C: D1CB0067 059E090B
	v_fma_f32 v128, v12, v4, v128                              // 00000000E974: D1CB0080 0602090C
	v_fma_f32 v129, v13, v4, v129                              // 00000000E97C: D1CB0081 0606090D
	v_fma_f32 v130, v14, v4, v130                              // 00000000E984: D1CB0082 060A090E
	v_fma_f32 v131, v15, v4, v131                              // 00000000E98C: D1CB0083 060E090F
	s_waitcnt vmcnt(26)                                        // 00000000E994: BF8C4F7A
	s_barrier                                                  // 00000000E998: BF8A0000
	v_mul_f32_dpp v4, v29, v51 row_newbcast:0 row_mask:0xf bank_mask:0xf// 00000000E99C: 0A0866FA FF01501D
	v_mfma_f32_16x16x32_fp8_fp8 v[8:11], a[144:145], a[56:57], 0// 00000000E9A4: D3F30008 1A027190
	buffer_load_dword v27, v23, s[32:35], 0 offen              // 00000000E9AC: E0501000 80081B17
	buffer_load_dwordx4 a[128:131], v72, s[84:87], 0 offen     // 00000000E9B4: E05C1000 80958048
	v_mfma_f32_16x16x32_fp8_fp8 v[8:11], a[146:147], a[58:59], v[8:11]// 00000000E9BC: D3F30008 1C227592
	v_mfma_f32_16x16x32_fp8_fp8 v[8:11], a[148:149], a[60:61], v[8:11]// 00000000E9C4: D3F30008 1C227994
	ds_read_b128 a[0:3], v2                                    // 00000000E9CC: DBFE0000 00000002
	ds_read_b128 a[4:7], v2 offset:64                          // 00000000E9D4: DBFE0040 04000002
	v_mfma_f32_16x16x32_fp8_fp8 v[8:11], a[150:151], a[62:63], v[8:11]// 00000000E9DC: D3F30008 1C227D96
	v_mfma_f32_16x16x32_fp8_fp8 v[12:15], a[152:153], a[56:57], 0// 00000000E9E4: D3F3000C 1A027198
	buffer_load_dwordx4 a[132:135], v72, s[84:87], 0 offen offset:1024// 00000000E9EC: E05C1400 80958448
	v_mfma_f32_16x16x32_fp8_fp8 v[12:15], a[154:155], a[58:59], v[12:15]// 00000000E9F4: D3F3000C 1C32759A
	v_mfma_f32_16x16x32_fp8_fp8 v[12:15], a[156:157], a[60:61], v[12:15]// 00000000E9FC: D3F3000C 1C32799C
	ds_read_b128 a[8:11], v2 offset:512                        // 00000000EA04: DBFE0200 08000002
	ds_read_b128 a[12:15], v2 offset:576                       // 00000000EA0C: DBFE0240 0C000002
	v_mfma_f32_16x16x32_fp8_fp8 v[12:15], a[158:159], a[62:63], v[12:15]// 00000000EA14: D3F3000C 1C327D9E
	v_fma_f32 v132, v8, v4, v132                               // 00000000EA1C: D1CB0084 06120908
	v_fma_f32 v133, v9, v4, v133                               // 00000000EA24: D1CB0085 06160909
	v_fma_f32 v134, v10, v4, v134                              // 00000000EA2C: D1CB0086 061A090A
	v_fma_f32 v135, v11, v4, v135                              // 00000000EA34: D1CB0087 061E090B
	v_mul_f32_dpp v6, v29, v52 row_newbcast:0 row_mask:0xf bank_mask:0xf// 00000000EA3C: 0A0C68FA FF01501D
	v_mfma_f32_16x16x32_fp8_fp8 v[8:11], a[144:145], a[64:65], 0// 00000000EA44: D3F30008 1A028190
	buffer_load_dwordx4 a[136:139], v73, s[84:87], 0 offen     // 00000000EA4C: E05C1000 80958849
	v_mfma_f32_16x16x32_fp8_fp8 v[8:11], a[146:147], a[66:67], v[8:11]// 00000000EA54: D3F30008 1C228592
	v_mfma_f32_16x16x32_fp8_fp8 v[8:11], a[148:149], a[68:69], v[8:11]// 00000000EA5C: D3F30008 1C228994
	ds_read_b128 a[16:19], v2 offset:1024                      // 00000000EA64: DBFE0400 10000002
	ds_read_b128 a[20:23], v2 offset:1088                      // 00000000EA6C: DBFE0440 14000002
	v_mfma_f32_16x16x32_fp8_fp8 v[8:11], a[150:151], a[70:71], v[8:11]// 00000000EA74: D3F30008 1C228D96
	v_fma_f32 v160, v12, v4, v160                              // 00000000EA7C: D1CB00A0 0682090C
	v_fma_f32 v161, v13, v4, v161                              // 00000000EA84: D1CB00A1 0686090D
	v_fma_f32 v162, v14, v4, v162                              // 00000000EA8C: D1CB00A2 068A090E
	v_fma_f32 v163, v15, v4, v163                              // 00000000EA94: D1CB00A3 068E090F
	v_mfma_f32_16x16x32_fp8_fp8 v[12:15], a[152:153], a[64:65], 0// 00000000EA9C: D3F3000C 1A028198
	buffer_load_dwordx4 a[140:143], v73, s[84:87], 0 offen offset:1024// 00000000EAA4: E05C1400 80958C49
	v_mfma_f32_16x16x32_fp8_fp8 v[12:15], a[154:155], a[66:67], v[12:15]// 00000000EAAC: D3F3000C 1C32859A
	v_mfma_f32_16x16x32_fp8_fp8 v[12:15], a[156:157], a[68:69], v[12:15]// 00000000EAB4: D3F3000C 1C32899C
	ds_read_b128 a[24:27], v2 offset:1536                      // 00000000EABC: DBFE0600 18000002
	ds_read_b128 a[28:31], v2 offset:1600                      // 00000000EAC4: DBFE0640 1C000002
	v_mfma_f32_16x16x32_fp8_fp8 v[12:15], a[158:159], a[70:71], v[12:15]// 00000000EACC: D3F3000C 1C328D9E
	v_fma_f32 v136, v8, v6, v136                               // 00000000EAD4: D1CB0088 06220D08
	v_fma_f32 v137, v9, v6, v137                               // 00000000EADC: D1CB0089 06260D09
	v_fma_f32 v138, v10, v6, v138                              // 00000000EAE4: D1CB008A 062A0D0A
	v_fma_f32 v139, v11, v6, v139                              // 00000000EAEC: D1CB008B 062E0D0B
	v_mul_f32_dpp v4, v29, v53 row_newbcast:0 row_mask:0xf bank_mask:0xf// 00000000EAF4: 0A086AFA FF01501D
	v_mfma_f32_16x16x32_fp8_fp8 v[8:11], a[144:145], a[72:73], 0// 00000000EAFC: D3F30008 1A029190
	v_mfma_f32_16x16x32_fp8_fp8 v[8:11], a[146:147], a[74:75], v[8:11]// 00000000EB04: D3F30008 1C229592
	v_mfma_f32_16x16x32_fp8_fp8 v[8:11], a[148:149], a[76:77], v[8:11]// 00000000EB0C: D3F30008 1C229994
	ds_read_b128 a[32:35], v2 offset:2048                      // 00000000EB14: DBFE0800 20000002
	ds_read_b128 a[36:39], v2 offset:2112                      // 00000000EB1C: DBFE0840 24000002
	v_mfma_f32_16x16x32_fp8_fp8 v[8:11], a[150:151], a[78:79], v[8:11]// 00000000EB24: D3F30008 1C229D96
	v_fma_f32 v164, v12, v6, v164                              // 00000000EB2C: D1CB00A4 06920D0C
	v_fma_f32 v165, v13, v6, v165                              // 00000000EB34: D1CB00A5 06960D0D
	v_fma_f32 v166, v14, v6, v166                              // 00000000EB3C: D1CB00A6 069A0D0E
	v_fma_f32 v167, v15, v6, v167                              // 00000000EB44: D1CB00A7 069E0D0F
	v_mfma_f32_16x16x32_fp8_fp8 v[12:15], a[152:153], a[72:73], 0// 00000000EB4C: D3F3000C 1A029198
	v_mfma_f32_16x16x32_fp8_fp8 v[12:15], a[154:155], a[74:75], v[12:15]// 00000000EB54: D3F3000C 1C32959A
	v_mfma_f32_16x16x32_fp8_fp8 v[12:15], a[156:157], a[76:77], v[12:15]// 00000000EB5C: D3F3000C 1C32999C
	ds_read_b128 a[40:43], v2 offset:2560                      // 00000000EB64: DBFE0A00 28000002
	ds_read_b128 a[44:47], v2 offset:2624                      // 00000000EB6C: DBFE0A40 2C000002
	v_mfma_f32_16x16x32_fp8_fp8 v[12:15], a[158:159], a[78:79], v[12:15]// 00000000EB74: D3F3000C 1C329D9E
	v_fma_f32 v140, v8, v4, v140                               // 00000000EB7C: D1CB008C 06320908
	v_fma_f32 v141, v9, v4, v141                               // 00000000EB84: D1CB008D 06360909
	v_fma_f32 v142, v10, v4, v142                              // 00000000EB8C: D1CB008E 063A090A
	v_fma_f32 v143, v11, v4, v143                              // 00000000EB94: D1CB008F 063E090B
	v_mul_f32_dpp v6, v29, v54 row_newbcast:0 row_mask:0xf bank_mask:0xf// 00000000EB9C: 0A0C6CFA FF01501D
	v_mfma_f32_16x16x32_fp8_fp8 v[8:11], a[144:145], a[80:81], 0// 00000000EBA4: D3F30008 1A02A190
	v_mfma_f32_16x16x32_fp8_fp8 v[8:11], a[146:147], a[82:83], v[8:11]// 00000000EBAC: D3F30008 1C22A592
	v_mfma_f32_16x16x32_fp8_fp8 v[8:11], a[148:149], a[84:85], v[8:11]// 00000000EBB4: D3F30008 1C22A994
	ds_read_b128 a[48:51], v2 offset:3072                      // 00000000EBBC: DBFE0C00 30000002
	ds_read_b128 a[52:55], v2 offset:3136                      // 00000000EBC4: DBFE0C40 34000002
	v_mfma_f32_16x16x32_fp8_fp8 v[8:11], a[150:151], a[86:87], v[8:11]// 00000000EBCC: D3F30008 1C22AD96
	v_fma_f32 v168, v12, v4, v168                              // 00000000EBD4: D1CB00A8 06A2090C
	v_fma_f32 v169, v13, v4, v169                              // 00000000EBDC: D1CB00A9 06A6090D
	v_fma_f32 v170, v14, v4, v170                              // 00000000EBE4: D1CB00AA 06AA090E
	v_fma_f32 v171, v15, v4, v171                              // 00000000EBEC: D1CB00AB 06AE090F
	v_mfma_f32_16x16x32_fp8_fp8 v[12:15], a[152:153], a[80:81], 0// 00000000EBF4: D3F3000C 1A02A198
	v_mfma_f32_16x16x32_fp8_fp8 v[12:15], a[154:155], a[82:83], v[12:15]// 00000000EBFC: D3F3000C 1C32A59A
	v_mfma_f32_16x16x32_fp8_fp8 v[12:15], a[156:157], a[84:85], v[12:15]// 00000000EC04: D3F3000C 1C32A99C
	v_mfma_f32_16x16x32_fp8_fp8 v[12:15], a[158:159], a[86:87], v[12:15]// 00000000EC0C: D3F3000C 1C32AD9E
	v_fma_f32 v144, v8, v6, v144                               // 00000000EC14: D1CB0090 06420D08
	v_fma_f32 v145, v9, v6, v145                               // 00000000EC1C: D1CB0091 06460D09
	v_fma_f32 v146, v10, v6, v146                              // 00000000EC24: D1CB0092 064A0D0A
	v_fma_f32 v147, v11, v6, v147                              // 00000000EC2C: D1CB0093 064E0D0B
	v_mul_f32_dpp v4, v29, v55 row_newbcast:0 row_mask:0xf bank_mask:0xf// 00000000EC34: 0A086EFA FF01501D
	v_mfma_f32_16x16x32_fp8_fp8 v[8:11], a[144:145], a[88:89], 0// 00000000EC3C: D3F30008 1A02B190
	v_mfma_f32_16x16x32_fp8_fp8 v[8:11], a[146:147], a[90:91], v[8:11]// 00000000EC44: D3F30008 1C22B592
	v_mfma_f32_16x16x32_fp8_fp8 v[8:11], a[148:149], a[92:93], v[8:11]// 00000000EC4C: D3F30008 1C22B994
	v_mfma_f32_16x16x32_fp8_fp8 v[8:11], a[150:151], a[94:95], v[8:11]// 00000000EC54: D3F30008 1C22BD96
	v_fma_f32 v172, v12, v6, v172                              // 00000000EC5C: D1CB00AC 06B20D0C
	v_fma_f32 v173, v13, v6, v173                              // 00000000EC64: D1CB00AD 06B60D0D
	v_fma_f32 v174, v14, v6, v174                              // 00000000EC6C: D1CB00AE 06BA0D0E
	v_fma_f32 v175, v15, v6, v175                              // 00000000EC74: D1CB00AF 06BE0D0F
	v_mfma_f32_16x16x32_fp8_fp8 v[12:15], a[152:153], a[88:89], 0// 00000000EC7C: D3F3000C 1A02B198
	v_mfma_f32_16x16x32_fp8_fp8 v[12:15], a[154:155], a[90:91], v[12:15]// 00000000EC84: D3F3000C 1C32B59A
	v_mfma_f32_16x16x32_fp8_fp8 v[12:15], a[156:157], a[92:93], v[12:15]// 00000000EC8C: D3F3000C 1C32B99C
	v_mfma_f32_16x16x32_fp8_fp8 v[12:15], a[158:159], a[94:95], v[12:15]// 00000000EC94: D3F3000C 1C32BD9E
	v_fma_f32 v148, v8, v4, v148                               // 00000000EC9C: D1CB0094 06520908
	v_fma_f32 v149, v9, v4, v149                               // 00000000ECA4: D1CB0095 06560909
	v_fma_f32 v150, v10, v4, v150                              // 00000000ECAC: D1CB0096 065A090A
	v_fma_f32 v151, v11, v4, v151                              // 00000000ECB4: D1CB0097 065E090B
	v_mul_f32_dpp v6, v29, v56 row_newbcast:0 row_mask:0xf bank_mask:0xf// 00000000ECBC: 0A0C70FA FF01501D
	v_mfma_f32_16x16x32_fp8_fp8 v[8:11], a[144:145], a[96:97], 0// 00000000ECC4: D3F30008 1A02C190
	v_mfma_f32_16x16x32_fp8_fp8 v[8:11], a[146:147], a[98:99], v[8:11]// 00000000ECCC: D3F30008 1C22C592
	v_mfma_f32_16x16x32_fp8_fp8 v[8:11], a[148:149], a[100:101], v[8:11]// 00000000ECD4: D3F30008 1C22C994
	v_mfma_f32_16x16x32_fp8_fp8 v[8:11], a[150:151], a[102:103], v[8:11]// 00000000ECDC: D3F30008 1C22CD96
	v_fma_f32 v176, v12, v4, v176                              // 00000000ECE4: D1CB00B0 06C2090C
	v_fma_f32 v177, v13, v4, v177                              // 00000000ECEC: D1CB00B1 06C6090D
	v_fma_f32 v178, v14, v4, v178                              // 00000000ECF4: D1CB00B2 06CA090E
	v_fma_f32 v179, v15, v4, v179                              // 00000000ECFC: D1CB00B3 06CE090F
	v_mfma_f32_16x16x32_fp8_fp8 v[12:15], a[152:153], a[96:97], 0// 00000000ED04: D3F3000C 1A02C198
	v_mfma_f32_16x16x32_fp8_fp8 v[12:15], a[154:155], a[98:99], v[12:15]// 00000000ED0C: D3F3000C 1C32C59A
	v_mfma_f32_16x16x32_fp8_fp8 v[12:15], a[156:157], a[100:101], v[12:15]// 00000000ED14: D3F3000C 1C32C99C
	v_mfma_f32_16x16x32_fp8_fp8 v[12:15], a[158:159], a[102:103], v[12:15]// 00000000ED1C: D3F3000C 1C32CD9E
	v_fma_f32 v152, v8, v6, v152                               // 00000000ED24: D1CB0098 06620D08
	v_fma_f32 v153, v9, v6, v153                               // 00000000ED2C: D1CB0099 06660D09
	v_fma_f32 v154, v10, v6, v154                              // 00000000ED34: D1CB009A 066A0D0A
	v_fma_f32 v155, v11, v6, v155                              // 00000000ED3C: D1CB009B 066E0D0B
	v_mul_f32_dpp v4, v29, v57 row_newbcast:0 row_mask:0xf bank_mask:0xf// 00000000ED44: 0A0872FA FF01501D
	v_mfma_f32_16x16x32_fp8_fp8 v[8:11], a[144:145], a[104:105], 0// 00000000ED4C: D3F30008 1A02D190
	s_add_u32 s60, 0x180, s80                                  // 00000000ED54: 803C50FF 00000180
	s_cmp_lt_u32 s60, s81                                      // 00000000ED5C: BF0A513C
	s_cselect_b32 s57, s57, 0                                  // 00000000ED60: 85398039
	s_cselect_b32 s3, s3, 0                                    // 00000000ED64: 85038003
	v_mfma_f32_16x16x32_fp8_fp8 v[8:11], a[146:147], a[106:107], v[8:11]// 00000000ED68: D3F30008 1C22D592
	s_add_u32 s60, 0x100, s80                                  // 00000000ED70: 803C50FF 00000100
	s_cmp_lt_u32 s60, s81                                      // 00000000ED78: BF0A513C
	s_cselect_b32 s58, s58, 0                                  // 00000000ED7C: 853A803A
	v_mfma_f32_16x16x32_fp8_fp8 v[8:11], a[148:149], a[108:109], v[8:11]// 00000000ED80: D3F30008 1C22D994
	s_add_u32 s60, 0x100, s80                                  // 00000000ED88: 803C50FF 00000100
	s_cmp_lt_u32 s60, s81                                      // 00000000ED90: BF0A513C
	s_cselect_b32 s83, s83, 0                                  // 00000000ED94: 85538053
	s_cselect_b32 s4, s4, 0                                    // 00000000ED98: 85048004
	v_mfma_f32_16x16x32_fp8_fp8 v[8:11], a[150:151], a[110:111], v[8:11]// 00000000ED9C: D3F30008 1C22DD96
	s_add_u32 s24, s58, s24                                    // 00000000EDA4: 8018183A
	s_addc_u32 s25, 0, s25                                     // 00000000EDA8: 82191980
	v_fma_f32 v180, v12, v6, v180                              // 00000000EDAC: D1CB00B4 06D20D0C
	v_fma_f32 v181, v13, v6, v181                              // 00000000EDB4: D1CB00B5 06D60D0D
	v_fma_f32 v182, v14, v6, v182                              // 00000000EDBC: D1CB00B6 06DA0D0E
	v_fma_f32 v183, v15, v6, v183                              // 00000000EDC4: D1CB00B7 06DE0D0F
	v_mfma_f32_16x16x32_fp8_fp8 v[12:15], a[152:153], a[104:105], 0// 00000000EDCC: D3F3000C 1A02D198
	s_add_u32 s20, s57, s20                                    // 00000000EDD4: 80141439
	s_addc_u32 s21, 0, s21                                     // 00000000EDD8: 82151580
	s_add_u32 s28, s3, s28                                     // 00000000EDDC: 801C1C03
	s_addc_u32 s29, 0, s29                                     // 00000000EDE0: 821D1D80
	v_mfma_f32_16x16x32_fp8_fp8 v[12:15], a[154:155], a[106:107], v[12:15]// 00000000EDE4: D3F3000C 1C32D59A
	s_add_u32 s84, s83, s84                                    // 00000000EDEC: 80545453
	s_addc_u32 s85, 0, s85                                     // 00000000EDF0: 82555580
	v_mfma_f32_16x16x32_fp8_fp8 v[12:15], a[156:157], a[108:109], v[12:15]// 00000000EDF4: D3F3000C 1C32D99C
	s_add_u32 s32, s4, s32                                     // 00000000EDFC: 80202004
	s_addc_u32 s33, 0, s33                                     // 00000000EE00: 82212180
	v_mfma_f32_16x16x32_fp8_fp8 v[12:15], a[158:159], a[110:111], v[12:15]// 00000000EE04: D3F3000C 1C32DD9E
	v_fma_f32 v156, v8, v4, v156                               // 00000000EE0C: D1CB009C 06720908
	v_fma_f32 v157, v9, v4, v157                               // 00000000EE14: D1CB009D 06760909
	v_fma_f32 v158, v10, v4, v158                              // 00000000EE1C: D1CB009E 067A090A
	v_fma_f32 v159, v11, v4, v159                              // 00000000EE24: D1CB009F 067E090B
	v_fma_f32 v184, v12, v4, v184                              // 00000000EE2C: D1CB00B8 06E2090C
	v_fma_f32 v185, v13, v4, v185                              // 00000000EE34: D1CB00B9 06E6090D
	v_fma_f32 v186, v14, v4, v186                              // 00000000EE3C: D1CB00BA 06EA090E
	v_fma_f32 v187, v15, v4, v187                              // 00000000EE44: D1CB00BB 06EE090F
	s_addk_i32 s80, 0x80                                       // 00000000EE4C: B7500080
	s_cmp_lt_i32 s80, s81                                      // 00000000EE50: BF045150
	s_cbranch_scc0 label_311A                                  // 00000000EE54: BF840001
	s_branch label_227F                                        // 00000000EE58: BF82F165

000000000000ee5c <label_311A>:
	s_cmp_eq_u32 s88, 0                                        // 00000000EE5C: BF068058
	s_cbranch_scc0 label_3A82                                  // 00000000EE60: BF840966
	s_cmp_eq_u32 s89, 0                                        // 00000000EE64: BF068059
	s_cbranch_scc1 label_3353                                  // 00000000EE68: BF850235
	v_mov_b32_e32 v8, v1                                       // 00000000EE6C: 7E100301
	v_mov_b32_e32 v9, v1                                       // 00000000EE70: 7E120301
	s_mov_b32 s60, s6                                          // 00000000EE74: BEBC0006
	s_mov_b32 s61, s6                                          // 00000000EE78: BEBD0006
	v_pk_mul_f32 v[4:5], v[76:77], v[76:77]                    // 00000000EE7C: D3B14004 1802994C
	v_pk_mul_f32 v[6:7], v[78:79], v[78:79]                    // 00000000EE84: D3B14006 18029D4E
	v_pk_fma_f32 v[4:5], v[4:5], s[78:79], v[8:9]              // 00000000EE8C: D3B04004 1C209D04
	v_pk_fma_f32 v[6:7], v[6:7], s[78:79], v[8:9]              // 00000000EE94: D3B04006 1C209D06
	v_pk_mul_f32 v[4:5], v[4:5], v[76:77]                      // 00000000EE9C: D3B14004 18029904
	v_pk_mul_f32 v[6:7], v[6:7], v[78:79]                      // 00000000EEA4: D3B14006 18029D06
	v_pk_mul_f32 v[4:5], v[4:5], s[60:61]                      // 00000000EEAC: D3B14004 18007904
	v_pk_mul_f32 v[6:7], v[6:7], s[60:61]                      // 00000000EEB4: D3B14006 18007906
	v_exp_f32_e32 v4, v4                                       // 00000000EEBC: 7E084104
	v_exp_f32_e32 v5, v5                                       // 00000000EEC0: 7E0A4105
	v_exp_f32_e32 v6, v6                                       // 00000000EEC4: 7E0C4106
	v_exp_f32_e32 v7, v7                                       // 00000000EEC8: 7E0E4107
	v_add_f32_e64 v4, v4, 1.0                                  // 00000000EECC: D1010004 0001E504
	v_add_f32_e64 v5, v5, 1.0                                  // 00000000EED4: D1010005 0001E505
	v_add_f32_e64 v6, v6, 1.0                                  // 00000000EEDC: D1010006 0001E506
	v_add_f32_e64 v7, v7, 1.0                                  // 00000000EEE4: D1010007 0001E507
	v_rcp_f32_e32 v4, v4                                       // 00000000EEEC: 7E084504
	v_rcp_f32_e32 v5, v5                                       // 00000000EEF0: 7E0A4505
	v_rcp_f32_e32 v6, v6                                       // 00000000EEF4: 7E0C4506
	v_rcp_f32_e32 v7, v7                                       // 00000000EEF8: 7E0E4507
	v_mul_f32_e32 v76, v76, v4                                 // 00000000EEFC: 0A98094C
	v_mul_f32_e32 v77, v77, v5                                 // 00000000EF00: 0A9A0B4D
	v_mul_f32_e32 v78, v78, v6                                 // 00000000EF04: 0A9C0D4E
	v_mul_f32_e32 v79, v79, v7                                 // 00000000EF08: 0A9E0F4F
	v_mul_f32_e32 v76, v76, v132                               // 00000000EF0C: 0A99094C
	v_mul_f32_e32 v77, v77, v133                               // 00000000EF10: 0A9B0B4D
	v_mul_f32_e32 v78, v78, v134                               // 00000000EF14: 0A9D0D4E
	v_mul_f32_e32 v79, v79, v135                               // 00000000EF18: 0A9F0F4F
	v_pk_mul_f32 v[4:5], v[80:81], v[80:81]                    // 00000000EF1C: D3B14004 1802A150
	v_pk_mul_f32 v[6:7], v[82:83], v[82:83]                    // 00000000EF24: D3B14006 1802A552
	v_pk_fma_f32 v[4:5], v[4:5], s[78:79], v[8:9]              // 00000000EF2C: D3B04004 1C209D04
	v_pk_fma_f32 v[6:7], v[6:7], s[78:79], v[8:9]              // 00000000EF34: D3B04006 1C209D06
	v_pk_mul_f32 v[4:5], v[4:5], v[80:81]                      // 00000000EF3C: D3B14004 1802A104
	v_pk_mul_f32 v[6:7], v[6:7], v[82:83]                      // 00000000EF44: D3B14006 1802A506
	v_pk_mul_f32 v[4:5], v[4:5], s[60:61]                      // 00000000EF4C: D3B14004 18007904
	v_pk_mul_f32 v[6:7], v[6:7], s[60:61]                      // 00000000EF54: D3B14006 18007906
	v_exp_f32_e32 v4, v4                                       // 00000000EF5C: 7E084104
	v_exp_f32_e32 v5, v5                                       // 00000000EF60: 7E0A4105
	v_exp_f32_e32 v6, v6                                       // 00000000EF64: 7E0C4106
	v_exp_f32_e32 v7, v7                                       // 00000000EF68: 7E0E4107
	v_add_f32_e64 v4, v4, 1.0                                  // 00000000EF6C: D1010004 0001E504
	v_add_f32_e64 v5, v5, 1.0                                  // 00000000EF74: D1010005 0001E505
	v_add_f32_e64 v6, v6, 1.0                                  // 00000000EF7C: D1010006 0001E506
	v_add_f32_e64 v7, v7, 1.0                                  // 00000000EF84: D1010007 0001E507
	v_rcp_f32_e32 v4, v4                                       // 00000000EF8C: 7E084504
	v_rcp_f32_e32 v5, v5                                       // 00000000EF90: 7E0A4505
	v_rcp_f32_e32 v6, v6                                       // 00000000EF94: 7E0C4506
	v_rcp_f32_e32 v7, v7                                       // 00000000EF98: 7E0E4507
	v_mul_f32_e32 v80, v80, v4                                 // 00000000EF9C: 0AA00950
	v_mul_f32_e32 v81, v81, v5                                 // 00000000EFA0: 0AA20B51
	v_mul_f32_e32 v82, v82, v6                                 // 00000000EFA4: 0AA40D52
	v_mul_f32_e32 v83, v83, v7                                 // 00000000EFA8: 0AA60F53
	v_mul_f32_e32 v80, v80, v136                               // 00000000EFAC: 0AA11150
	v_mul_f32_e32 v81, v81, v137                               // 00000000EFB0: 0AA31351
	v_mul_f32_e32 v82, v82, v138                               // 00000000EFB4: 0AA51552
	v_mul_f32_e32 v83, v83, v139                               // 00000000EFB8: 0AA71753
	v_pk_mul_f32 v[4:5], v[84:85], v[84:85]                    // 00000000EFBC: D3B14004 1802A954
	v_pk_mul_f32 v[6:7], v[86:87], v[86:87]                    // 00000000EFC4: D3B14006 1802AD56
	v_pk_fma_f32 v[4:5], v[4:5], s[78:79], v[8:9]              // 00000000EFCC: D3B04004 1C209D04
	v_pk_fma_f32 v[6:7], v[6:7], s[78:79], v[8:9]              // 00000000EFD4: D3B04006 1C209D06
	v_pk_mul_f32 v[4:5], v[4:5], v[84:85]                      // 00000000EFDC: D3B14004 1802A904
	v_pk_mul_f32 v[6:7], v[6:7], v[86:87]                      // 00000000EFE4: D3B14006 1802AD06
	v_pk_mul_f32 v[4:5], v[4:5], s[60:61]                      // 00000000EFEC: D3B14004 18007904
	v_pk_mul_f32 v[6:7], v[6:7], s[60:61]                      // 00000000EFF4: D3B14006 18007906
	v_exp_f32_e32 v4, v4                                       // 00000000EFFC: 7E084104
	v_exp_f32_e32 v5, v5                                       // 00000000F000: 7E0A4105
	v_exp_f32_e32 v6, v6                                       // 00000000F004: 7E0C4106
	v_exp_f32_e32 v7, v7                                       // 00000000F008: 7E0E4107
	v_add_f32_e64 v4, v4, 1.0                                  // 00000000F00C: D1010004 0001E504
	v_add_f32_e64 v5, v5, 1.0                                  // 00000000F014: D1010005 0001E505
	v_add_f32_e64 v6, v6, 1.0                                  // 00000000F01C: D1010006 0001E506
	v_add_f32_e64 v7, v7, 1.0                                  // 00000000F024: D1010007 0001E507
	v_rcp_f32_e32 v4, v4                                       // 00000000F02C: 7E084504
	v_rcp_f32_e32 v5, v5                                       // 00000000F030: 7E0A4505
	v_rcp_f32_e32 v6, v6                                       // 00000000F034: 7E0C4506
	v_rcp_f32_e32 v7, v7                                       // 00000000F038: 7E0E4507
	v_mul_f32_e32 v84, v84, v4                                 // 00000000F03C: 0AA80954
	v_mul_f32_e32 v85, v85, v5                                 // 00000000F040: 0AAA0B55
	v_mul_f32_e32 v86, v86, v6                                 // 00000000F044: 0AAC0D56
	v_mul_f32_e32 v87, v87, v7                                 // 00000000F048: 0AAE0F57
	v_mul_f32_e32 v84, v84, v140                               // 00000000F04C: 0AA91954
	v_mul_f32_e32 v85, v85, v141                               // 00000000F050: 0AAB1B55
	v_mul_f32_e32 v86, v86, v142                               // 00000000F054: 0AAD1D56
	v_mul_f32_e32 v87, v87, v143                               // 00000000F058: 0AAF1F57
	v_pk_mul_f32 v[4:5], v[88:89], v[88:89]                    // 00000000F05C: D3B14004 1802B158
	v_pk_mul_f32 v[6:7], v[90:91], v[90:91]                    // 00000000F064: D3B14006 1802B55A
	v_pk_fma_f32 v[4:5], v[4:5], s[78:79], v[8:9]              // 00000000F06C: D3B04004 1C209D04
	v_pk_fma_f32 v[6:7], v[6:7], s[78:79], v[8:9]              // 00000000F074: D3B04006 1C209D06
	v_pk_mul_f32 v[4:5], v[4:5], v[88:89]                      // 00000000F07C: D3B14004 1802B104
	v_pk_mul_f32 v[6:7], v[6:7], v[90:91]                      // 00000000F084: D3B14006 1802B506
	v_pk_mul_f32 v[4:5], v[4:5], s[60:61]                      // 00000000F08C: D3B14004 18007904
	v_pk_mul_f32 v[6:7], v[6:7], s[60:61]                      // 00000000F094: D3B14006 18007906
	v_exp_f32_e32 v4, v4                                       // 00000000F09C: 7E084104
	v_exp_f32_e32 v5, v5                                       // 00000000F0A0: 7E0A4105
	v_exp_f32_e32 v6, v6                                       // 00000000F0A4: 7E0C4106
	v_exp_f32_e32 v7, v7                                       // 00000000F0A8: 7E0E4107
	v_add_f32_e64 v4, v4, 1.0                                  // 00000000F0AC: D1010004 0001E504
	v_add_f32_e64 v5, v5, 1.0                                  // 00000000F0B4: D1010005 0001E505
	v_add_f32_e64 v6, v6, 1.0                                  // 00000000F0BC: D1010006 0001E506
	v_add_f32_e64 v7, v7, 1.0                                  // 00000000F0C4: D1010007 0001E507
	v_rcp_f32_e32 v4, v4                                       // 00000000F0CC: 7E084504
	v_rcp_f32_e32 v5, v5                                       // 00000000F0D0: 7E0A4505
	v_rcp_f32_e32 v6, v6                                       // 00000000F0D4: 7E0C4506
	v_rcp_f32_e32 v7, v7                                       // 00000000F0D8: 7E0E4507
	v_mul_f32_e32 v88, v88, v4                                 // 00000000F0DC: 0AB00958
	v_mul_f32_e32 v89, v89, v5                                 // 00000000F0E0: 0AB20B59
	v_mul_f32_e32 v90, v90, v6                                 // 00000000F0E4: 0AB40D5A
	v_mul_f32_e32 v91, v91, v7                                 // 00000000F0E8: 0AB60F5B
	v_mul_f32_e32 v88, v88, v144                               // 00000000F0EC: 0AB12158
	v_mul_f32_e32 v89, v89, v145                               // 00000000F0F0: 0AB32359
	v_mul_f32_e32 v90, v90, v146                               // 00000000F0F4: 0AB5255A
	v_mul_f32_e32 v91, v91, v147                               // 00000000F0F8: 0AB7275B
	v_pk_mul_f32 v[4:5], v[92:93], v[92:93]                    // 00000000F0FC: D3B14004 1802B95C
	v_pk_mul_f32 v[6:7], v[94:95], v[94:95]                    // 00000000F104: D3B14006 1802BD5E
	v_pk_fma_f32 v[4:5], v[4:5], s[78:79], v[8:9]              // 00000000F10C: D3B04004 1C209D04
	v_pk_fma_f32 v[6:7], v[6:7], s[78:79], v[8:9]              // 00000000F114: D3B04006 1C209D06
	v_pk_mul_f32 v[4:5], v[4:5], v[92:93]                      // 00000000F11C: D3B14004 1802B904
	v_pk_mul_f32 v[6:7], v[6:7], v[94:95]                      // 00000000F124: D3B14006 1802BD06
	v_pk_mul_f32 v[4:5], v[4:5], s[60:61]                      // 00000000F12C: D3B14004 18007904
	v_pk_mul_f32 v[6:7], v[6:7], s[60:61]                      // 00000000F134: D3B14006 18007906
	v_exp_f32_e32 v4, v4                                       // 00000000F13C: 7E084104
	v_exp_f32_e32 v5, v5                                       // 00000000F140: 7E0A4105
	v_exp_f32_e32 v6, v6                                       // 00000000F144: 7E0C4106
	v_exp_f32_e32 v7, v7                                       // 00000000F148: 7E0E4107
	v_add_f32_e64 v4, v4, 1.0                                  // 00000000F14C: D1010004 0001E504
	v_add_f32_e64 v5, v5, 1.0                                  // 00000000F154: D1010005 0001E505
	v_add_f32_e64 v6, v6, 1.0                                  // 00000000F15C: D1010006 0001E506
	v_add_f32_e64 v7, v7, 1.0                                  // 00000000F164: D1010007 0001E507
	v_rcp_f32_e32 v4, v4                                       // 00000000F16C: 7E084504
	v_rcp_f32_e32 v5, v5                                       // 00000000F170: 7E0A4505
	v_rcp_f32_e32 v6, v6                                       // 00000000F174: 7E0C4506
	v_rcp_f32_e32 v7, v7                                       // 00000000F178: 7E0E4507
	v_mul_f32_e32 v92, v92, v4                                 // 00000000F17C: 0AB8095C
	v_mul_f32_e32 v93, v93, v5                                 // 00000000F180: 0ABA0B5D
	v_mul_f32_e32 v94, v94, v6                                 // 00000000F184: 0ABC0D5E
	v_mul_f32_e32 v95, v95, v7                                 // 00000000F188: 0ABE0F5F
	v_mul_f32_e32 v92, v92, v148                               // 00000000F18C: 0AB9295C
	v_mul_f32_e32 v93, v93, v149                               // 00000000F190: 0ABB2B5D
	v_mul_f32_e32 v94, v94, v150                               // 00000000F194: 0ABD2D5E
	v_mul_f32_e32 v95, v95, v151                               // 00000000F198: 0ABF2F5F
	v_pk_mul_f32 v[4:5], v[96:97], v[96:97]                    // 00000000F19C: D3B14004 1802C160
	v_pk_mul_f32 v[6:7], v[98:99], v[98:99]                    // 00000000F1A4: D3B14006 1802C562
	v_pk_fma_f32 v[4:5], v[4:5], s[78:79], v[8:9]              // 00000000F1AC: D3B04004 1C209D04
	v_pk_fma_f32 v[6:7], v[6:7], s[78:79], v[8:9]              // 00000000F1B4: D3B04006 1C209D06
	v_pk_mul_f32 v[4:5], v[4:5], v[96:97]                      // 00000000F1BC: D3B14004 1802C104
	v_pk_mul_f32 v[6:7], v[6:7], v[98:99]                      // 00000000F1C4: D3B14006 1802C506
	v_pk_mul_f32 v[4:5], v[4:5], s[60:61]                      // 00000000F1CC: D3B14004 18007904
	v_pk_mul_f32 v[6:7], v[6:7], s[60:61]                      // 00000000F1D4: D3B14006 18007906
	v_exp_f32_e32 v4, v4                                       // 00000000F1DC: 7E084104
	v_exp_f32_e32 v5, v5                                       // 00000000F1E0: 7E0A4105
	v_exp_f32_e32 v6, v6                                       // 00000000F1E4: 7E0C4106
	v_exp_f32_e32 v7, v7                                       // 00000000F1E8: 7E0E4107
	v_add_f32_e64 v4, v4, 1.0                                  // 00000000F1EC: D1010004 0001E504
	v_add_f32_e64 v5, v5, 1.0                                  // 00000000F1F4: D1010005 0001E505
	v_add_f32_e64 v6, v6, 1.0                                  // 00000000F1FC: D1010006 0001E506
	v_add_f32_e64 v7, v7, 1.0                                  // 00000000F204: D1010007 0001E507
	v_rcp_f32_e32 v4, v4                                       // 00000000F20C: 7E084504
	v_rcp_f32_e32 v5, v5                                       // 00000000F210: 7E0A4505
	v_rcp_f32_e32 v6, v6                                       // 00000000F214: 7E0C4506
	v_rcp_f32_e32 v7, v7                                       // 00000000F218: 7E0E4507
	v_mul_f32_e32 v96, v96, v4                                 // 00000000F21C: 0AC00960
	v_mul_f32_e32 v97, v97, v5                                 // 00000000F220: 0AC20B61
	v_mul_f32_e32 v98, v98, v6                                 // 00000000F224: 0AC40D62
	v_mul_f32_e32 v99, v99, v7                                 // 00000000F228: 0AC60F63
	v_mul_f32_e32 v96, v96, v152                               // 00000000F22C: 0AC13160
	v_mul_f32_e32 v97, v97, v153                               // 00000000F230: 0AC33361
	v_mul_f32_e32 v98, v98, v154                               // 00000000F234: 0AC53562
	v_mul_f32_e32 v99, v99, v155                               // 00000000F238: 0AC73763
	v_pk_mul_f32 v[4:5], v[100:101], v[100:101]                // 00000000F23C: D3B14004 1802C964
	v_pk_mul_f32 v[6:7], v[102:103], v[102:103]                // 00000000F244: D3B14006 1802CD66
	v_pk_fma_f32 v[4:5], v[4:5], s[78:79], v[8:9]              // 00000000F24C: D3B04004 1C209D04
	v_pk_fma_f32 v[6:7], v[6:7], s[78:79], v[8:9]              // 00000000F254: D3B04006 1C209D06
	v_pk_mul_f32 v[4:5], v[4:5], v[100:101]                    // 00000000F25C: D3B14004 1802C904
	v_pk_mul_f32 v[6:7], v[6:7], v[102:103]                    // 00000000F264: D3B14006 1802CD06
	v_pk_mul_f32 v[4:5], v[4:5], s[60:61]                      // 00000000F26C: D3B14004 18007904
	v_pk_mul_f32 v[6:7], v[6:7], s[60:61]                      // 00000000F274: D3B14006 18007906
	v_exp_f32_e32 v4, v4                                       // 00000000F27C: 7E084104
	v_exp_f32_e32 v5, v5                                       // 00000000F280: 7E0A4105
	v_exp_f32_e32 v6, v6                                       // 00000000F284: 7E0C4106
	v_exp_f32_e32 v7, v7                                       // 00000000F288: 7E0E4107
	v_add_f32_e64 v4, v4, 1.0                                  // 00000000F28C: D1010004 0001E504
	v_add_f32_e64 v5, v5, 1.0                                  // 00000000F294: D1010005 0001E505
	v_add_f32_e64 v6, v6, 1.0                                  // 00000000F29C: D1010006 0001E506
	v_add_f32_e64 v7, v7, 1.0                                  // 00000000F2A4: D1010007 0001E507
	v_rcp_f32_e32 v4, v4                                       // 00000000F2AC: 7E084504
	v_rcp_f32_e32 v5, v5                                       // 00000000F2B0: 7E0A4505
	v_rcp_f32_e32 v6, v6                                       // 00000000F2B4: 7E0C4506
	v_rcp_f32_e32 v7, v7                                       // 00000000F2B8: 7E0E4507
	v_mul_f32_e32 v100, v100, v4                               // 00000000F2BC: 0AC80964
	v_mul_f32_e32 v101, v101, v5                               // 00000000F2C0: 0ACA0B65
	v_mul_f32_e32 v102, v102, v6                               // 00000000F2C4: 0ACC0D66
	v_mul_f32_e32 v103, v103, v7                               // 00000000F2C8: 0ACE0F67
	v_mul_f32_e32 v100, v100, v156                             // 00000000F2CC: 0AC93964
	v_mul_f32_e32 v101, v101, v157                             // 00000000F2D0: 0ACB3B65
	v_mul_f32_e32 v102, v102, v158                             // 00000000F2D4: 0ACD3D66
	v_mul_f32_e32 v103, v103, v159                             // 00000000F2D8: 0ACF3F67
	v_pk_mul_f32 v[4:5], v[104:105], v[104:105]                // 00000000F2DC: D3B14004 1802D168
	v_pk_mul_f32 v[6:7], v[106:107], v[106:107]                // 00000000F2E4: D3B14006 1802D56A
	v_pk_fma_f32 v[4:5], v[4:5], s[78:79], v[8:9]              // 00000000F2EC: D3B04004 1C209D04
	v_pk_fma_f32 v[6:7], v[6:7], s[78:79], v[8:9]              // 00000000F2F4: D3B04006 1C209D06
	v_pk_mul_f32 v[4:5], v[4:5], v[104:105]                    // 00000000F2FC: D3B14004 1802D104
	v_pk_mul_f32 v[6:7], v[6:7], v[106:107]                    // 00000000F304: D3B14006 1802D506
	v_pk_mul_f32 v[4:5], v[4:5], s[60:61]                      // 00000000F30C: D3B14004 18007904
	v_pk_mul_f32 v[6:7], v[6:7], s[60:61]                      // 00000000F314: D3B14006 18007906
	v_exp_f32_e32 v4, v4                                       // 00000000F31C: 7E084104
	v_exp_f32_e32 v5, v5                                       // 00000000F320: 7E0A4105
	v_exp_f32_e32 v6, v6                                       // 00000000F324: 7E0C4106
	v_exp_f32_e32 v7, v7                                       // 00000000F328: 7E0E4107
	v_add_f32_e64 v4, v4, 1.0                                  // 00000000F32C: D1010004 0001E504
	v_add_f32_e64 v5, v5, 1.0                                  // 00000000F334: D1010005 0001E505
	v_add_f32_e64 v6, v6, 1.0                                  // 00000000F33C: D1010006 0001E506
	v_add_f32_e64 v7, v7, 1.0                                  // 00000000F344: D1010007 0001E507
	v_rcp_f32_e32 v4, v4                                       // 00000000F34C: 7E084504
	v_rcp_f32_e32 v5, v5                                       // 00000000F350: 7E0A4505
	v_rcp_f32_e32 v6, v6                                       // 00000000F354: 7E0C4506
	v_rcp_f32_e32 v7, v7                                       // 00000000F358: 7E0E4507
	v_mul_f32_e32 v104, v104, v4                               // 00000000F35C: 0AD00968
	v_mul_f32_e32 v105, v105, v5                               // 00000000F360: 0AD20B69
	v_mul_f32_e32 v106, v106, v6                               // 00000000F364: 0AD40D6A
	v_mul_f32_e32 v107, v107, v7                               // 00000000F368: 0AD60F6B
	v_mul_f32_e32 v104, v104, v160                             // 00000000F36C: 0AD14168
	v_mul_f32_e32 v105, v105, v161                             // 00000000F370: 0AD34369
	v_mul_f32_e32 v106, v106, v162                             // 00000000F374: 0AD5456A
	v_mul_f32_e32 v107, v107, v163                             // 00000000F378: 0AD7476B
	v_pk_mul_f32 v[4:5], v[108:109], v[108:109]                // 00000000F37C: D3B14004 1802D96C
	v_pk_mul_f32 v[6:7], v[110:111], v[110:111]                // 00000000F384: D3B14006 1802DD6E
	v_pk_fma_f32 v[4:5], v[4:5], s[78:79], v[8:9]              // 00000000F38C: D3B04004 1C209D04
	v_pk_fma_f32 v[6:7], v[6:7], s[78:79], v[8:9]              // 00000000F394: D3B04006 1C209D06
	v_pk_mul_f32 v[4:5], v[4:5], v[108:109]                    // 00000000F39C: D3B14004 1802D904
	v_pk_mul_f32 v[6:7], v[6:7], v[110:111]                    // 00000000F3A4: D3B14006 1802DD06
	v_pk_mul_f32 v[4:5], v[4:5], s[60:61]                      // 00000000F3AC: D3B14004 18007904
	v_pk_mul_f32 v[6:7], v[6:7], s[60:61]                      // 00000000F3B4: D3B14006 18007906
	v_exp_f32_e32 v4, v4                                       // 00000000F3BC: 7E084104
	v_exp_f32_e32 v5, v5                                       // 00000000F3C0: 7E0A4105
	v_exp_f32_e32 v6, v6                                       // 00000000F3C4: 7E0C4106
	v_exp_f32_e32 v7, v7                                       // 00000000F3C8: 7E0E4107
	v_add_f32_e64 v4, v4, 1.0                                  // 00000000F3CC: D1010004 0001E504
	v_add_f32_e64 v5, v5, 1.0                                  // 00000000F3D4: D1010005 0001E505
	v_add_f32_e64 v6, v6, 1.0                                  // 00000000F3DC: D1010006 0001E506
	v_add_f32_e64 v7, v7, 1.0                                  // 00000000F3E4: D1010007 0001E507
	v_rcp_f32_e32 v4, v4                                       // 00000000F3EC: 7E084504
	v_rcp_f32_e32 v5, v5                                       // 00000000F3F0: 7E0A4505
	v_rcp_f32_e32 v6, v6                                       // 00000000F3F4: 7E0C4506
	v_rcp_f32_e32 v7, v7                                       // 00000000F3F8: 7E0E4507
	v_mul_f32_e32 v108, v108, v4                               // 00000000F3FC: 0AD8096C
	v_mul_f32_e32 v109, v109, v5                               // 00000000F400: 0ADA0B6D
	v_mul_f32_e32 v110, v110, v6                               // 00000000F404: 0ADC0D6E
	v_mul_f32_e32 v111, v111, v7                               // 00000000F408: 0ADE0F6F
	v_mul_f32_e32 v108, v108, v164                             // 00000000F40C: 0AD9496C
	v_mul_f32_e32 v109, v109, v165                             // 00000000F410: 0ADB4B6D
	v_mul_f32_e32 v110, v110, v166                             // 00000000F414: 0ADD4D6E
	v_mul_f32_e32 v111, v111, v167                             // 00000000F418: 0ADF4F6F
	v_pk_mul_f32 v[4:5], v[112:113], v[112:113]                // 00000000F41C: D3B14004 1802E170
	v_pk_mul_f32 v[6:7], v[114:115], v[114:115]                // 00000000F424: D3B14006 1802E572
	v_pk_fma_f32 v[4:5], v[4:5], s[78:79], v[8:9]              // 00000000F42C: D3B04004 1C209D04
	v_pk_fma_f32 v[6:7], v[6:7], s[78:79], v[8:9]              // 00000000F434: D3B04006 1C209D06
	v_pk_mul_f32 v[4:5], v[4:5], v[112:113]                    // 00000000F43C: D3B14004 1802E104
	v_pk_mul_f32 v[6:7], v[6:7], v[114:115]                    // 00000000F444: D3B14006 1802E506
	v_pk_mul_f32 v[4:5], v[4:5], s[60:61]                      // 00000000F44C: D3B14004 18007904
	v_pk_mul_f32 v[6:7], v[6:7], s[60:61]                      // 00000000F454: D3B14006 18007906
	v_exp_f32_e32 v4, v4                                       // 00000000F45C: 7E084104
	v_exp_f32_e32 v5, v5                                       // 00000000F460: 7E0A4105
	v_exp_f32_e32 v6, v6                                       // 00000000F464: 7E0C4106
	v_exp_f32_e32 v7, v7                                       // 00000000F468: 7E0E4107
	v_add_f32_e64 v4, v4, 1.0                                  // 00000000F46C: D1010004 0001E504
	v_add_f32_e64 v5, v5, 1.0                                  // 00000000F474: D1010005 0001E505
	v_add_f32_e64 v6, v6, 1.0                                  // 00000000F47C: D1010006 0001E506
	v_add_f32_e64 v7, v7, 1.0                                  // 00000000F484: D1010007 0001E507
	v_rcp_f32_e32 v4, v4                                       // 00000000F48C: 7E084504
	v_rcp_f32_e32 v5, v5                                       // 00000000F490: 7E0A4505
	v_rcp_f32_e32 v6, v6                                       // 00000000F494: 7E0C4506
	v_rcp_f32_e32 v7, v7                                       // 00000000F498: 7E0E4507
	v_mul_f32_e32 v112, v112, v4                               // 00000000F49C: 0AE00970
	v_mul_f32_e32 v113, v113, v5                               // 00000000F4A0: 0AE20B71
	v_mul_f32_e32 v114, v114, v6                               // 00000000F4A4: 0AE40D72
	v_mul_f32_e32 v115, v115, v7                               // 00000000F4A8: 0AE60F73
	v_mul_f32_e32 v112, v112, v168                             // 00000000F4AC: 0AE15170
	v_mul_f32_e32 v113, v113, v169                             // 00000000F4B0: 0AE35371
	v_mul_f32_e32 v114, v114, v170                             // 00000000F4B4: 0AE55572
	v_mul_f32_e32 v115, v115, v171                             // 00000000F4B8: 0AE75773
	v_pk_mul_f32 v[4:5], v[116:117], v[116:117]                // 00000000F4BC: D3B14004 1802E974
	v_pk_mul_f32 v[6:7], v[118:119], v[118:119]                // 00000000F4C4: D3B14006 1802ED76
	v_pk_fma_f32 v[4:5], v[4:5], s[78:79], v[8:9]              // 00000000F4CC: D3B04004 1C209D04
	v_pk_fma_f32 v[6:7], v[6:7], s[78:79], v[8:9]              // 00000000F4D4: D3B04006 1C209D06
	v_pk_mul_f32 v[4:5], v[4:5], v[116:117]                    // 00000000F4DC: D3B14004 1802E904
	v_pk_mul_f32 v[6:7], v[6:7], v[118:119]                    // 00000000F4E4: D3B14006 1802ED06
	v_pk_mul_f32 v[4:5], v[4:5], s[60:61]                      // 00000000F4EC: D3B14004 18007904
	v_pk_mul_f32 v[6:7], v[6:7], s[60:61]                      // 00000000F4F4: D3B14006 18007906
	v_exp_f32_e32 v4, v4                                       // 00000000F4FC: 7E084104
	v_exp_f32_e32 v5, v5                                       // 00000000F500: 7E0A4105
	v_exp_f32_e32 v6, v6                                       // 00000000F504: 7E0C4106
	v_exp_f32_e32 v7, v7                                       // 00000000F508: 7E0E4107
	v_add_f32_e64 v4, v4, 1.0                                  // 00000000F50C: D1010004 0001E504
	v_add_f32_e64 v5, v5, 1.0                                  // 00000000F514: D1010005 0001E505
	v_add_f32_e64 v6, v6, 1.0                                  // 00000000F51C: D1010006 0001E506
	v_add_f32_e64 v7, v7, 1.0                                  // 00000000F524: D1010007 0001E507
	v_rcp_f32_e32 v4, v4                                       // 00000000F52C: 7E084504
	v_rcp_f32_e32 v5, v5                                       // 00000000F530: 7E0A4505
	v_rcp_f32_e32 v6, v6                                       // 00000000F534: 7E0C4506
	v_rcp_f32_e32 v7, v7                                       // 00000000F538: 7E0E4507
	v_mul_f32_e32 v116, v116, v4                               // 00000000F53C: 0AE80974
	v_mul_f32_e32 v117, v117, v5                               // 00000000F540: 0AEA0B75
	v_mul_f32_e32 v118, v118, v6                               // 00000000F544: 0AEC0D76
	v_mul_f32_e32 v119, v119, v7                               // 00000000F548: 0AEE0F77
	v_mul_f32_e32 v116, v116, v172                             // 00000000F54C: 0AE95974
	v_mul_f32_e32 v117, v117, v173                             // 00000000F550: 0AEB5B75
	v_mul_f32_e32 v118, v118, v174                             // 00000000F554: 0AED5D76
	v_mul_f32_e32 v119, v119, v175                             // 00000000F558: 0AEF5F77
	v_pk_mul_f32 v[4:5], v[120:121], v[120:121]                // 00000000F55C: D3B14004 1802F178
	v_pk_mul_f32 v[6:7], v[122:123], v[122:123]                // 00000000F564: D3B14006 1802F57A
	v_pk_fma_f32 v[4:5], v[4:5], s[78:79], v[8:9]              // 00000000F56C: D3B04004 1C209D04
	v_pk_fma_f32 v[6:7], v[6:7], s[78:79], v[8:9]              // 00000000F574: D3B04006 1C209D06
	v_pk_mul_f32 v[4:5], v[4:5], v[120:121]                    // 00000000F57C: D3B14004 1802F104
	v_pk_mul_f32 v[6:7], v[6:7], v[122:123]                    // 00000000F584: D3B14006 1802F506
	v_pk_mul_f32 v[4:5], v[4:5], s[60:61]                      // 00000000F58C: D3B14004 18007904
	v_pk_mul_f32 v[6:7], v[6:7], s[60:61]                      // 00000000F594: D3B14006 18007906
	v_exp_f32_e32 v4, v4                                       // 00000000F59C: 7E084104
	v_exp_f32_e32 v5, v5                                       // 00000000F5A0: 7E0A4105
	v_exp_f32_e32 v6, v6                                       // 00000000F5A4: 7E0C4106
	v_exp_f32_e32 v7, v7                                       // 00000000F5A8: 7E0E4107
	v_add_f32_e64 v4, v4, 1.0                                  // 00000000F5AC: D1010004 0001E504
	v_add_f32_e64 v5, v5, 1.0                                  // 00000000F5B4: D1010005 0001E505
	v_add_f32_e64 v6, v6, 1.0                                  // 00000000F5BC: D1010006 0001E506
	v_add_f32_e64 v7, v7, 1.0                                  // 00000000F5C4: D1010007 0001E507
	v_rcp_f32_e32 v4, v4                                       // 00000000F5CC: 7E084504
	v_rcp_f32_e32 v5, v5                                       // 00000000F5D0: 7E0A4505
	v_rcp_f32_e32 v6, v6                                       // 00000000F5D4: 7E0C4506
	v_rcp_f32_e32 v7, v7                                       // 00000000F5D8: 7E0E4507
	v_mul_f32_e32 v120, v120, v4                               // 00000000F5DC: 0AF00978
	v_mul_f32_e32 v121, v121, v5                               // 00000000F5E0: 0AF20B79
	v_mul_f32_e32 v122, v122, v6                               // 00000000F5E4: 0AF40D7A
	v_mul_f32_e32 v123, v123, v7                               // 00000000F5E8: 0AF60F7B
	v_mul_f32_e32 v120, v120, v176                             // 00000000F5EC: 0AF16178
	v_mul_f32_e32 v121, v121, v177                             // 00000000F5F0: 0AF36379
	v_mul_f32_e32 v122, v122, v178                             // 00000000F5F4: 0AF5657A
	v_mul_f32_e32 v123, v123, v179                             // 00000000F5F8: 0AF7677B
	v_pk_mul_f32 v[4:5], v[124:125], v[124:125]                // 00000000F5FC: D3B14004 1802F97C
	v_pk_mul_f32 v[6:7], v[126:127], v[126:127]                // 00000000F604: D3B14006 1802FD7E
	v_pk_fma_f32 v[4:5], v[4:5], s[78:79], v[8:9]              // 00000000F60C: D3B04004 1C209D04
	v_pk_fma_f32 v[6:7], v[6:7], s[78:79], v[8:9]              // 00000000F614: D3B04006 1C209D06
	v_pk_mul_f32 v[4:5], v[4:5], v[124:125]                    // 00000000F61C: D3B14004 1802F904
	v_pk_mul_f32 v[6:7], v[6:7], v[126:127]                    // 00000000F624: D3B14006 1802FD06
	v_pk_mul_f32 v[4:5], v[4:5], s[60:61]                      // 00000000F62C: D3B14004 18007904
	v_pk_mul_f32 v[6:7], v[6:7], s[60:61]                      // 00000000F634: D3B14006 18007906
	v_exp_f32_e32 v4, v4                                       // 00000000F63C: 7E084104
	v_exp_f32_e32 v5, v5                                       // 00000000F640: 7E0A4105
	v_exp_f32_e32 v6, v6                                       // 00000000F644: 7E0C4106
	v_exp_f32_e32 v7, v7                                       // 00000000F648: 7E0E4107
	v_add_f32_e64 v4, v4, 1.0                                  // 00000000F64C: D1010004 0001E504
	v_add_f32_e64 v5, v5, 1.0                                  // 00000000F654: D1010005 0001E505
	v_add_f32_e64 v6, v6, 1.0                                  // 00000000F65C: D1010006 0001E506
	v_add_f32_e64 v7, v7, 1.0                                  // 00000000F664: D1010007 0001E507
	v_rcp_f32_e32 v4, v4                                       // 00000000F66C: 7E084504
	v_rcp_f32_e32 v5, v5                                       // 00000000F670: 7E0A4505
	v_rcp_f32_e32 v6, v6                                       // 00000000F674: 7E0C4506
	v_rcp_f32_e32 v7, v7                                       // 00000000F678: 7E0E4507
	v_mul_f32_e32 v124, v124, v4                               // 00000000F67C: 0AF8097C
	v_mul_f32_e32 v125, v125, v5                               // 00000000F680: 0AFA0B7D
	v_mul_f32_e32 v126, v126, v6                               // 00000000F684: 0AFC0D7E
	v_mul_f32_e32 v127, v127, v7                               // 00000000F688: 0AFE0F7F
	v_mul_f32_e32 v124, v124, v180                             // 00000000F68C: 0AF9697C
	v_mul_f32_e32 v125, v125, v181                             // 00000000F690: 0AFB6B7D
	v_mul_f32_e32 v126, v126, v182                             // 00000000F694: 0AFD6D7E
	v_mul_f32_e32 v127, v127, v183                             // 00000000F698: 0AFF6F7F
	v_pk_mul_f32 v[4:5], v[128:129], v[128:129]                // 00000000F69C: D3B14004 18030180
	v_pk_mul_f32 v[6:7], v[130:131], v[130:131]                // 00000000F6A4: D3B14006 18030582
	v_pk_fma_f32 v[4:5], v[4:5], s[78:79], v[8:9]              // 00000000F6AC: D3B04004 1C209D04
	v_pk_fma_f32 v[6:7], v[6:7], s[78:79], v[8:9]              // 00000000F6B4: D3B04006 1C209D06
	v_pk_mul_f32 v[4:5], v[4:5], v[128:129]                    // 00000000F6BC: D3B14004 18030104
	v_pk_mul_f32 v[6:7], v[6:7], v[130:131]                    // 00000000F6C4: D3B14006 18030506
	v_pk_mul_f32 v[4:5], v[4:5], s[60:61]                      // 00000000F6CC: D3B14004 18007904
	v_pk_mul_f32 v[6:7], v[6:7], s[60:61]                      // 00000000F6D4: D3B14006 18007906
	v_exp_f32_e32 v4, v4                                       // 00000000F6DC: 7E084104
	v_exp_f32_e32 v5, v5                                       // 00000000F6E0: 7E0A4105
	v_exp_f32_e32 v6, v6                                       // 00000000F6E4: 7E0C4106
	v_exp_f32_e32 v7, v7                                       // 00000000F6E8: 7E0E4107
	v_add_f32_e64 v4, v4, 1.0                                  // 00000000F6EC: D1010004 0001E504
	v_add_f32_e64 v5, v5, 1.0                                  // 00000000F6F4: D1010005 0001E505
	v_add_f32_e64 v6, v6, 1.0                                  // 00000000F6FC: D1010006 0001E506
	v_add_f32_e64 v7, v7, 1.0                                  // 00000000F704: D1010007 0001E507
	v_rcp_f32_e32 v4, v4                                       // 00000000F70C: 7E084504
	v_rcp_f32_e32 v5, v5                                       // 00000000F710: 7E0A4505
	v_rcp_f32_e32 v6, v6                                       // 00000000F714: 7E0C4506
	v_rcp_f32_e32 v7, v7                                       // 00000000F718: 7E0E4507
	v_mul_f32_e32 v128, v128, v4                               // 00000000F71C: 0B000980
	v_mul_f32_e32 v129, v129, v5                               // 00000000F720: 0B020B81
	v_mul_f32_e32 v130, v130, v6                               // 00000000F724: 0B040D82
	v_mul_f32_e32 v131, v131, v7                               // 00000000F728: 0B060F83
	v_mul_f32_e32 v128, v128, v184                             // 00000000F72C: 0B017180
	v_mul_f32_e32 v129, v129, v185                             // 00000000F730: 0B037381
	v_mul_f32_e32 v130, v130, v186                             // 00000000F734: 0B057582
	v_mul_f32_e32 v131, v131, v187                             // 00000000F738: 0B077783
	s_branch label_3513                                        // 00000000F73C: BF8201C0

000000000000f740 <label_3353>:
	v_mul_f32_e64 v4, -v76, s6                                 // 00000000F740: D1050004 20000D4C
	v_mul_f32_e64 v5, -v77, s6                                 // 00000000F748: D1050005 20000D4D
	v_mul_f32_e64 v6, -v78, s6                                 // 00000000F750: D1050006 20000D4E
	v_mul_f32_e64 v7, -v79, s6                                 // 00000000F758: D1050007 20000D4F
	v_exp_f32_e32 v4, v4                                       // 00000000F760: 7E084104
	v_exp_f32_e32 v5, v5                                       // 00000000F764: 7E0A4105
	v_exp_f32_e32 v6, v6                                       // 00000000F768: 7E0C4106
	v_exp_f32_e32 v7, v7                                       // 00000000F76C: 7E0E4107
	v_add_f32_e64 v4, v4, 1.0                                  // 00000000F770: D1010004 0001E504
	v_add_f32_e64 v5, v5, 1.0                                  // 00000000F778: D1010005 0001E505
	v_add_f32_e64 v6, v6, 1.0                                  // 00000000F780: D1010006 0001E506
	v_add_f32_e64 v7, v7, 1.0                                  // 00000000F788: D1010007 0001E507
	v_rcp_f32_e32 v4, v4                                       // 00000000F790: 7E084504
	v_rcp_f32_e32 v5, v5                                       // 00000000F794: 7E0A4505
	v_rcp_f32_e32 v6, v6                                       // 00000000F798: 7E0C4506
	v_rcp_f32_e32 v7, v7                                       // 00000000F79C: 7E0E4507
	v_mul_f32_e32 v76, v76, v4                                 // 00000000F7A0: 0A98094C
	v_mul_f32_e32 v77, v77, v5                                 // 00000000F7A4: 0A9A0B4D
	v_mul_f32_e32 v78, v78, v6                                 // 00000000F7A8: 0A9C0D4E
	v_mul_f32_e32 v79, v79, v7                                 // 00000000F7AC: 0A9E0F4F
	v_mul_f32_e32 v76, v76, v132                               // 00000000F7B0: 0A99094C
	v_mul_f32_e32 v77, v77, v133                               // 00000000F7B4: 0A9B0B4D
	v_mul_f32_e32 v78, v78, v134                               // 00000000F7B8: 0A9D0D4E
	v_mul_f32_e32 v79, v79, v135                               // 00000000F7BC: 0A9F0F4F
	v_mul_f32_e64 v4, -v80, s6                                 // 00000000F7C0: D1050004 20000D50
	v_mul_f32_e64 v5, -v81, s6                                 // 00000000F7C8: D1050005 20000D51
	v_mul_f32_e64 v6, -v82, s6                                 // 00000000F7D0: D1050006 20000D52
	v_mul_f32_e64 v7, -v83, s6                                 // 00000000F7D8: D1050007 20000D53
	v_exp_f32_e32 v4, v4                                       // 00000000F7E0: 7E084104
	v_exp_f32_e32 v5, v5                                       // 00000000F7E4: 7E0A4105
	v_exp_f32_e32 v6, v6                                       // 00000000F7E8: 7E0C4106
	v_exp_f32_e32 v7, v7                                       // 00000000F7EC: 7E0E4107
	v_add_f32_e64 v4, v4, 1.0                                  // 00000000F7F0: D1010004 0001E504
	v_add_f32_e64 v5, v5, 1.0                                  // 00000000F7F8: D1010005 0001E505
	v_add_f32_e64 v6, v6, 1.0                                  // 00000000F800: D1010006 0001E506
	v_add_f32_e64 v7, v7, 1.0                                  // 00000000F808: D1010007 0001E507
	v_rcp_f32_e32 v4, v4                                       // 00000000F810: 7E084504
	v_rcp_f32_e32 v5, v5                                       // 00000000F814: 7E0A4505
	v_rcp_f32_e32 v6, v6                                       // 00000000F818: 7E0C4506
	v_rcp_f32_e32 v7, v7                                       // 00000000F81C: 7E0E4507
	v_mul_f32_e32 v80, v80, v4                                 // 00000000F820: 0AA00950
	v_mul_f32_e32 v81, v81, v5                                 // 00000000F824: 0AA20B51
	v_mul_f32_e32 v82, v82, v6                                 // 00000000F828: 0AA40D52
	v_mul_f32_e32 v83, v83, v7                                 // 00000000F82C: 0AA60F53
	v_mul_f32_e32 v80, v80, v136                               // 00000000F830: 0AA11150
	v_mul_f32_e32 v81, v81, v137                               // 00000000F834: 0AA31351
	v_mul_f32_e32 v82, v82, v138                               // 00000000F838: 0AA51552
	v_mul_f32_e32 v83, v83, v139                               // 00000000F83C: 0AA71753
	v_mul_f32_e64 v4, -v84, s6                                 // 00000000F840: D1050004 20000D54
	v_mul_f32_e64 v5, -v85, s6                                 // 00000000F848: D1050005 20000D55
	v_mul_f32_e64 v6, -v86, s6                                 // 00000000F850: D1050006 20000D56
	v_mul_f32_e64 v7, -v87, s6                                 // 00000000F858: D1050007 20000D57
	v_exp_f32_e32 v4, v4                                       // 00000000F860: 7E084104
	v_exp_f32_e32 v5, v5                                       // 00000000F864: 7E0A4105
	v_exp_f32_e32 v6, v6                                       // 00000000F868: 7E0C4106
	v_exp_f32_e32 v7, v7                                       // 00000000F86C: 7E0E4107
	v_add_f32_e64 v4, v4, 1.0                                  // 00000000F870: D1010004 0001E504
	v_add_f32_e64 v5, v5, 1.0                                  // 00000000F878: D1010005 0001E505
	v_add_f32_e64 v6, v6, 1.0                                  // 00000000F880: D1010006 0001E506
	v_add_f32_e64 v7, v7, 1.0                                  // 00000000F888: D1010007 0001E507
	v_rcp_f32_e32 v4, v4                                       // 00000000F890: 7E084504
	v_rcp_f32_e32 v5, v5                                       // 00000000F894: 7E0A4505
	v_rcp_f32_e32 v6, v6                                       // 00000000F898: 7E0C4506
	v_rcp_f32_e32 v7, v7                                       // 00000000F89C: 7E0E4507
	v_mul_f32_e32 v84, v84, v4                                 // 00000000F8A0: 0AA80954
	v_mul_f32_e32 v85, v85, v5                                 // 00000000F8A4: 0AAA0B55
	v_mul_f32_e32 v86, v86, v6                                 // 00000000F8A8: 0AAC0D56
	v_mul_f32_e32 v87, v87, v7                                 // 00000000F8AC: 0AAE0F57
	v_mul_f32_e32 v84, v84, v140                               // 00000000F8B0: 0AA91954
	v_mul_f32_e32 v85, v85, v141                               // 00000000F8B4: 0AAB1B55
	v_mul_f32_e32 v86, v86, v142                               // 00000000F8B8: 0AAD1D56
	v_mul_f32_e32 v87, v87, v143                               // 00000000F8BC: 0AAF1F57
	v_mul_f32_e64 v4, -v88, s6                                 // 00000000F8C0: D1050004 20000D58
	v_mul_f32_e64 v5, -v89, s6                                 // 00000000F8C8: D1050005 20000D59
	v_mul_f32_e64 v6, -v90, s6                                 // 00000000F8D0: D1050006 20000D5A
	v_mul_f32_e64 v7, -v91, s6                                 // 00000000F8D8: D1050007 20000D5B
	v_exp_f32_e32 v4, v4                                       // 00000000F8E0: 7E084104
	v_exp_f32_e32 v5, v5                                       // 00000000F8E4: 7E0A4105
	v_exp_f32_e32 v6, v6                                       // 00000000F8E8: 7E0C4106
	v_exp_f32_e32 v7, v7                                       // 00000000F8EC: 7E0E4107
	v_add_f32_e64 v4, v4, 1.0                                  // 00000000F8F0: D1010004 0001E504
	v_add_f32_e64 v5, v5, 1.0                                  // 00000000F8F8: D1010005 0001E505
	v_add_f32_e64 v6, v6, 1.0                                  // 00000000F900: D1010006 0001E506
	v_add_f32_e64 v7, v7, 1.0                                  // 00000000F908: D1010007 0001E507
	v_rcp_f32_e32 v4, v4                                       // 00000000F910: 7E084504
	v_rcp_f32_e32 v5, v5                                       // 00000000F914: 7E0A4505
	v_rcp_f32_e32 v6, v6                                       // 00000000F918: 7E0C4506
	v_rcp_f32_e32 v7, v7                                       // 00000000F91C: 7E0E4507
	v_mul_f32_e32 v88, v88, v4                                 // 00000000F920: 0AB00958
	v_mul_f32_e32 v89, v89, v5                                 // 00000000F924: 0AB20B59
	v_mul_f32_e32 v90, v90, v6                                 // 00000000F928: 0AB40D5A
	v_mul_f32_e32 v91, v91, v7                                 // 00000000F92C: 0AB60F5B
	v_mul_f32_e32 v88, v88, v144                               // 00000000F930: 0AB12158
	v_mul_f32_e32 v89, v89, v145                               // 00000000F934: 0AB32359
	v_mul_f32_e32 v90, v90, v146                               // 00000000F938: 0AB5255A
	v_mul_f32_e32 v91, v91, v147                               // 00000000F93C: 0AB7275B
	v_mul_f32_e64 v4, -v92, s6                                 // 00000000F940: D1050004 20000D5C
	v_mul_f32_e64 v5, -v93, s6                                 // 00000000F948: D1050005 20000D5D
	v_mul_f32_e64 v6, -v94, s6                                 // 00000000F950: D1050006 20000D5E
	v_mul_f32_e64 v7, -v95, s6                                 // 00000000F958: D1050007 20000D5F
	v_exp_f32_e32 v4, v4                                       // 00000000F960: 7E084104
	v_exp_f32_e32 v5, v5                                       // 00000000F964: 7E0A4105
	v_exp_f32_e32 v6, v6                                       // 00000000F968: 7E0C4106
	v_exp_f32_e32 v7, v7                                       // 00000000F96C: 7E0E4107
	v_add_f32_e64 v4, v4, 1.0                                  // 00000000F970: D1010004 0001E504
	v_add_f32_e64 v5, v5, 1.0                                  // 00000000F978: D1010005 0001E505
	v_add_f32_e64 v6, v6, 1.0                                  // 00000000F980: D1010006 0001E506
	v_add_f32_e64 v7, v7, 1.0                                  // 00000000F988: D1010007 0001E507
	v_rcp_f32_e32 v4, v4                                       // 00000000F990: 7E084504
	v_rcp_f32_e32 v5, v5                                       // 00000000F994: 7E0A4505
	v_rcp_f32_e32 v6, v6                                       // 00000000F998: 7E0C4506
	v_rcp_f32_e32 v7, v7                                       // 00000000F99C: 7E0E4507
	v_mul_f32_e32 v92, v92, v4                                 // 00000000F9A0: 0AB8095C
	v_mul_f32_e32 v93, v93, v5                                 // 00000000F9A4: 0ABA0B5D
	v_mul_f32_e32 v94, v94, v6                                 // 00000000F9A8: 0ABC0D5E
	v_mul_f32_e32 v95, v95, v7                                 // 00000000F9AC: 0ABE0F5F
	v_mul_f32_e32 v92, v92, v148                               // 00000000F9B0: 0AB9295C
	v_mul_f32_e32 v93, v93, v149                               // 00000000F9B4: 0ABB2B5D
	v_mul_f32_e32 v94, v94, v150                               // 00000000F9B8: 0ABD2D5E
	v_mul_f32_e32 v95, v95, v151                               // 00000000F9BC: 0ABF2F5F
	v_mul_f32_e64 v4, -v96, s6                                 // 00000000F9C0: D1050004 20000D60
	v_mul_f32_e64 v5, -v97, s6                                 // 00000000F9C8: D1050005 20000D61
	v_mul_f32_e64 v6, -v98, s6                                 // 00000000F9D0: D1050006 20000D62
	v_mul_f32_e64 v7, -v99, s6                                 // 00000000F9D8: D1050007 20000D63
	v_exp_f32_e32 v4, v4                                       // 00000000F9E0: 7E084104
	v_exp_f32_e32 v5, v5                                       // 00000000F9E4: 7E0A4105
	v_exp_f32_e32 v6, v6                                       // 00000000F9E8: 7E0C4106
	v_exp_f32_e32 v7, v7                                       // 00000000F9EC: 7E0E4107
	v_add_f32_e64 v4, v4, 1.0                                  // 00000000F9F0: D1010004 0001E504
	v_add_f32_e64 v5, v5, 1.0                                  // 00000000F9F8: D1010005 0001E505
	v_add_f32_e64 v6, v6, 1.0                                  // 00000000FA00: D1010006 0001E506
	v_add_f32_e64 v7, v7, 1.0                                  // 00000000FA08: D1010007 0001E507
	v_rcp_f32_e32 v4, v4                                       // 00000000FA10: 7E084504
	v_rcp_f32_e32 v5, v5                                       // 00000000FA14: 7E0A4505
	v_rcp_f32_e32 v6, v6                                       // 00000000FA18: 7E0C4506
	v_rcp_f32_e32 v7, v7                                       // 00000000FA1C: 7E0E4507
	v_mul_f32_e32 v96, v96, v4                                 // 00000000FA20: 0AC00960
	v_mul_f32_e32 v97, v97, v5                                 // 00000000FA24: 0AC20B61
	v_mul_f32_e32 v98, v98, v6                                 // 00000000FA28: 0AC40D62
	v_mul_f32_e32 v99, v99, v7                                 // 00000000FA2C: 0AC60F63
	v_mul_f32_e32 v96, v96, v152                               // 00000000FA30: 0AC13160
	v_mul_f32_e32 v97, v97, v153                               // 00000000FA34: 0AC33361
	v_mul_f32_e32 v98, v98, v154                               // 00000000FA38: 0AC53562
	v_mul_f32_e32 v99, v99, v155                               // 00000000FA3C: 0AC73763
	v_mul_f32_e64 v4, -v100, s6                                // 00000000FA40: D1050004 20000D64
	v_mul_f32_e64 v5, -v101, s6                                // 00000000FA48: D1050005 20000D65
	v_mul_f32_e64 v6, -v102, s6                                // 00000000FA50: D1050006 20000D66
	v_mul_f32_e64 v7, -v103, s6                                // 00000000FA58: D1050007 20000D67
	v_exp_f32_e32 v4, v4                                       // 00000000FA60: 7E084104
	v_exp_f32_e32 v5, v5                                       // 00000000FA64: 7E0A4105
	v_exp_f32_e32 v6, v6                                       // 00000000FA68: 7E0C4106
	v_exp_f32_e32 v7, v7                                       // 00000000FA6C: 7E0E4107
	v_add_f32_e64 v4, v4, 1.0                                  // 00000000FA70: D1010004 0001E504
	v_add_f32_e64 v5, v5, 1.0                                  // 00000000FA78: D1010005 0001E505
	v_add_f32_e64 v6, v6, 1.0                                  // 00000000FA80: D1010006 0001E506
	v_add_f32_e64 v7, v7, 1.0                                  // 00000000FA88: D1010007 0001E507
	v_rcp_f32_e32 v4, v4                                       // 00000000FA90: 7E084504
	v_rcp_f32_e32 v5, v5                                       // 00000000FA94: 7E0A4505
	v_rcp_f32_e32 v6, v6                                       // 00000000FA98: 7E0C4506
	v_rcp_f32_e32 v7, v7                                       // 00000000FA9C: 7E0E4507
	v_mul_f32_e32 v100, v100, v4                               // 00000000FAA0: 0AC80964
	v_mul_f32_e32 v101, v101, v5                               // 00000000FAA4: 0ACA0B65
	v_mul_f32_e32 v102, v102, v6                               // 00000000FAA8: 0ACC0D66
	v_mul_f32_e32 v103, v103, v7                               // 00000000FAAC: 0ACE0F67
	v_mul_f32_e32 v100, v100, v156                             // 00000000FAB0: 0AC93964
	v_mul_f32_e32 v101, v101, v157                             // 00000000FAB4: 0ACB3B65
	v_mul_f32_e32 v102, v102, v158                             // 00000000FAB8: 0ACD3D66
	v_mul_f32_e32 v103, v103, v159                             // 00000000FABC: 0ACF3F67
	v_mul_f32_e64 v4, -v104, s6                                // 00000000FAC0: D1050004 20000D68
	v_mul_f32_e64 v5, -v105, s6                                // 00000000FAC8: D1050005 20000D69
	v_mul_f32_e64 v6, -v106, s6                                // 00000000FAD0: D1050006 20000D6A
	v_mul_f32_e64 v7, -v107, s6                                // 00000000FAD8: D1050007 20000D6B
	v_exp_f32_e32 v4, v4                                       // 00000000FAE0: 7E084104
	v_exp_f32_e32 v5, v5                                       // 00000000FAE4: 7E0A4105
	v_exp_f32_e32 v6, v6                                       // 00000000FAE8: 7E0C4106
	v_exp_f32_e32 v7, v7                                       // 00000000FAEC: 7E0E4107
	v_add_f32_e64 v4, v4, 1.0                                  // 00000000FAF0: D1010004 0001E504
	v_add_f32_e64 v5, v5, 1.0                                  // 00000000FAF8: D1010005 0001E505
	v_add_f32_e64 v6, v6, 1.0                                  // 00000000FB00: D1010006 0001E506
	v_add_f32_e64 v7, v7, 1.0                                  // 00000000FB08: D1010007 0001E507
	v_rcp_f32_e32 v4, v4                                       // 00000000FB10: 7E084504
	v_rcp_f32_e32 v5, v5                                       // 00000000FB14: 7E0A4505
	v_rcp_f32_e32 v6, v6                                       // 00000000FB18: 7E0C4506
	v_rcp_f32_e32 v7, v7                                       // 00000000FB1C: 7E0E4507
	v_mul_f32_e32 v104, v104, v4                               // 00000000FB20: 0AD00968
	v_mul_f32_e32 v105, v105, v5                               // 00000000FB24: 0AD20B69
	v_mul_f32_e32 v106, v106, v6                               // 00000000FB28: 0AD40D6A
	v_mul_f32_e32 v107, v107, v7                               // 00000000FB2C: 0AD60F6B
	v_mul_f32_e32 v104, v104, v160                             // 00000000FB30: 0AD14168
	v_mul_f32_e32 v105, v105, v161                             // 00000000FB34: 0AD34369
	v_mul_f32_e32 v106, v106, v162                             // 00000000FB38: 0AD5456A
	v_mul_f32_e32 v107, v107, v163                             // 00000000FB3C: 0AD7476B
	v_mul_f32_e64 v4, -v108, s6                                // 00000000FB40: D1050004 20000D6C
	v_mul_f32_e64 v5, -v109, s6                                // 00000000FB48: D1050005 20000D6D
	v_mul_f32_e64 v6, -v110, s6                                // 00000000FB50: D1050006 20000D6E
	v_mul_f32_e64 v7, -v111, s6                                // 00000000FB58: D1050007 20000D6F
	v_exp_f32_e32 v4, v4                                       // 00000000FB60: 7E084104
	v_exp_f32_e32 v5, v5                                       // 00000000FB64: 7E0A4105
	v_exp_f32_e32 v6, v6                                       // 00000000FB68: 7E0C4106
	v_exp_f32_e32 v7, v7                                       // 00000000FB6C: 7E0E4107
	v_add_f32_e64 v4, v4, 1.0                                  // 00000000FB70: D1010004 0001E504
	v_add_f32_e64 v5, v5, 1.0                                  // 00000000FB78: D1010005 0001E505
	v_add_f32_e64 v6, v6, 1.0                                  // 00000000FB80: D1010006 0001E506
	v_add_f32_e64 v7, v7, 1.0                                  // 00000000FB88: D1010007 0001E507
	v_rcp_f32_e32 v4, v4                                       // 00000000FB90: 7E084504
	v_rcp_f32_e32 v5, v5                                       // 00000000FB94: 7E0A4505
	v_rcp_f32_e32 v6, v6                                       // 00000000FB98: 7E0C4506
	v_rcp_f32_e32 v7, v7                                       // 00000000FB9C: 7E0E4507
	v_mul_f32_e32 v108, v108, v4                               // 00000000FBA0: 0AD8096C
	v_mul_f32_e32 v109, v109, v5                               // 00000000FBA4: 0ADA0B6D
	v_mul_f32_e32 v110, v110, v6                               // 00000000FBA8: 0ADC0D6E
	v_mul_f32_e32 v111, v111, v7                               // 00000000FBAC: 0ADE0F6F
	v_mul_f32_e32 v108, v108, v164                             // 00000000FBB0: 0AD9496C
	v_mul_f32_e32 v109, v109, v165                             // 00000000FBB4: 0ADB4B6D
	v_mul_f32_e32 v110, v110, v166                             // 00000000FBB8: 0ADD4D6E
	v_mul_f32_e32 v111, v111, v167                             // 00000000FBBC: 0ADF4F6F
	v_mul_f32_e64 v4, -v112, s6                                // 00000000FBC0: D1050004 20000D70
	v_mul_f32_e64 v5, -v113, s6                                // 00000000FBC8: D1050005 20000D71
	v_mul_f32_e64 v6, -v114, s6                                // 00000000FBD0: D1050006 20000D72
	v_mul_f32_e64 v7, -v115, s6                                // 00000000FBD8: D1050007 20000D73
	v_exp_f32_e32 v4, v4                                       // 00000000FBE0: 7E084104
	v_exp_f32_e32 v5, v5                                       // 00000000FBE4: 7E0A4105
	v_exp_f32_e32 v6, v6                                       // 00000000FBE8: 7E0C4106
	v_exp_f32_e32 v7, v7                                       // 00000000FBEC: 7E0E4107
	v_add_f32_e64 v4, v4, 1.0                                  // 00000000FBF0: D1010004 0001E504
	v_add_f32_e64 v5, v5, 1.0                                  // 00000000FBF8: D1010005 0001E505
	v_add_f32_e64 v6, v6, 1.0                                  // 00000000FC00: D1010006 0001E506
	v_add_f32_e64 v7, v7, 1.0                                  // 00000000FC08: D1010007 0001E507
	v_rcp_f32_e32 v4, v4                                       // 00000000FC10: 7E084504
	v_rcp_f32_e32 v5, v5                                       // 00000000FC14: 7E0A4505
	v_rcp_f32_e32 v6, v6                                       // 00000000FC18: 7E0C4506
	v_rcp_f32_e32 v7, v7                                       // 00000000FC1C: 7E0E4507
	v_mul_f32_e32 v112, v112, v4                               // 00000000FC20: 0AE00970
	v_mul_f32_e32 v113, v113, v5                               // 00000000FC24: 0AE20B71
	v_mul_f32_e32 v114, v114, v6                               // 00000000FC28: 0AE40D72
	v_mul_f32_e32 v115, v115, v7                               // 00000000FC2C: 0AE60F73
	v_mul_f32_e32 v112, v112, v168                             // 00000000FC30: 0AE15170
	v_mul_f32_e32 v113, v113, v169                             // 00000000FC34: 0AE35371
	v_mul_f32_e32 v114, v114, v170                             // 00000000FC38: 0AE55572
	v_mul_f32_e32 v115, v115, v171                             // 00000000FC3C: 0AE75773
	v_mul_f32_e64 v4, -v116, s6                                // 00000000FC40: D1050004 20000D74
	v_mul_f32_e64 v5, -v117, s6                                // 00000000FC48: D1050005 20000D75
	v_mul_f32_e64 v6, -v118, s6                                // 00000000FC50: D1050006 20000D76
	v_mul_f32_e64 v7, -v119, s6                                // 00000000FC58: D1050007 20000D77
	v_exp_f32_e32 v4, v4                                       // 00000000FC60: 7E084104
	v_exp_f32_e32 v5, v5                                       // 00000000FC64: 7E0A4105
	v_exp_f32_e32 v6, v6                                       // 00000000FC68: 7E0C4106
	v_exp_f32_e32 v7, v7                                       // 00000000FC6C: 7E0E4107
	v_add_f32_e64 v4, v4, 1.0                                  // 00000000FC70: D1010004 0001E504
	v_add_f32_e64 v5, v5, 1.0                                  // 00000000FC78: D1010005 0001E505
	v_add_f32_e64 v6, v6, 1.0                                  // 00000000FC80: D1010006 0001E506
	v_add_f32_e64 v7, v7, 1.0                                  // 00000000FC88: D1010007 0001E507
	v_rcp_f32_e32 v4, v4                                       // 00000000FC90: 7E084504
	v_rcp_f32_e32 v5, v5                                       // 00000000FC94: 7E0A4505
	v_rcp_f32_e32 v6, v6                                       // 00000000FC98: 7E0C4506
	v_rcp_f32_e32 v7, v7                                       // 00000000FC9C: 7E0E4507
	v_mul_f32_e32 v116, v116, v4                               // 00000000FCA0: 0AE80974
	v_mul_f32_e32 v117, v117, v5                               // 00000000FCA4: 0AEA0B75
	v_mul_f32_e32 v118, v118, v6                               // 00000000FCA8: 0AEC0D76
	v_mul_f32_e32 v119, v119, v7                               // 00000000FCAC: 0AEE0F77
	v_mul_f32_e32 v116, v116, v172                             // 00000000FCB0: 0AE95974
	v_mul_f32_e32 v117, v117, v173                             // 00000000FCB4: 0AEB5B75
	v_mul_f32_e32 v118, v118, v174                             // 00000000FCB8: 0AED5D76
	v_mul_f32_e32 v119, v119, v175                             // 00000000FCBC: 0AEF5F77
	v_mul_f32_e64 v4, -v120, s6                                // 00000000FCC0: D1050004 20000D78
	v_mul_f32_e64 v5, -v121, s6                                // 00000000FCC8: D1050005 20000D79
	v_mul_f32_e64 v6, -v122, s6                                // 00000000FCD0: D1050006 20000D7A
	v_mul_f32_e64 v7, -v123, s6                                // 00000000FCD8: D1050007 20000D7B
	v_exp_f32_e32 v4, v4                                       // 00000000FCE0: 7E084104
	v_exp_f32_e32 v5, v5                                       // 00000000FCE4: 7E0A4105
	v_exp_f32_e32 v6, v6                                       // 00000000FCE8: 7E0C4106
	v_exp_f32_e32 v7, v7                                       // 00000000FCEC: 7E0E4107
	v_add_f32_e64 v4, v4, 1.0                                  // 00000000FCF0: D1010004 0001E504
	v_add_f32_e64 v5, v5, 1.0                                  // 00000000FCF8: D1010005 0001E505
	v_add_f32_e64 v6, v6, 1.0                                  // 00000000FD00: D1010006 0001E506
	v_add_f32_e64 v7, v7, 1.0                                  // 00000000FD08: D1010007 0001E507
	v_rcp_f32_e32 v4, v4                                       // 00000000FD10: 7E084504
	v_rcp_f32_e32 v5, v5                                       // 00000000FD14: 7E0A4505
	v_rcp_f32_e32 v6, v6                                       // 00000000FD18: 7E0C4506
	v_rcp_f32_e32 v7, v7                                       // 00000000FD1C: 7E0E4507
	v_mul_f32_e32 v120, v120, v4                               // 00000000FD20: 0AF00978
	v_mul_f32_e32 v121, v121, v5                               // 00000000FD24: 0AF20B79
	v_mul_f32_e32 v122, v122, v6                               // 00000000FD28: 0AF40D7A
	v_mul_f32_e32 v123, v123, v7                               // 00000000FD2C: 0AF60F7B
	v_mul_f32_e32 v120, v120, v176                             // 00000000FD30: 0AF16178
	v_mul_f32_e32 v121, v121, v177                             // 00000000FD34: 0AF36379
	v_mul_f32_e32 v122, v122, v178                             // 00000000FD38: 0AF5657A
	v_mul_f32_e32 v123, v123, v179                             // 00000000FD3C: 0AF7677B
	v_mul_f32_e64 v4, -v124, s6                                // 00000000FD40: D1050004 20000D7C
	v_mul_f32_e64 v5, -v125, s6                                // 00000000FD48: D1050005 20000D7D
	v_mul_f32_e64 v6, -v126, s6                                // 00000000FD50: D1050006 20000D7E
	v_mul_f32_e64 v7, -v127, s6                                // 00000000FD58: D1050007 20000D7F
	v_exp_f32_e32 v4, v4                                       // 00000000FD60: 7E084104
	v_exp_f32_e32 v5, v5                                       // 00000000FD64: 7E0A4105
	v_exp_f32_e32 v6, v6                                       // 00000000FD68: 7E0C4106
	v_exp_f32_e32 v7, v7                                       // 00000000FD6C: 7E0E4107
	v_add_f32_e64 v4, v4, 1.0                                  // 00000000FD70: D1010004 0001E504
	v_add_f32_e64 v5, v5, 1.0                                  // 00000000FD78: D1010005 0001E505
	v_add_f32_e64 v6, v6, 1.0                                  // 00000000FD80: D1010006 0001E506
	v_add_f32_e64 v7, v7, 1.0                                  // 00000000FD88: D1010007 0001E507
	v_rcp_f32_e32 v4, v4                                       // 00000000FD90: 7E084504
	v_rcp_f32_e32 v5, v5                                       // 00000000FD94: 7E0A4505
	v_rcp_f32_e32 v6, v6                                       // 00000000FD98: 7E0C4506
	v_rcp_f32_e32 v7, v7                                       // 00000000FD9C: 7E0E4507
	v_mul_f32_e32 v124, v124, v4                               // 00000000FDA0: 0AF8097C
	v_mul_f32_e32 v125, v125, v5                               // 00000000FDA4: 0AFA0B7D
	v_mul_f32_e32 v126, v126, v6                               // 00000000FDA8: 0AFC0D7E
	v_mul_f32_e32 v127, v127, v7                               // 00000000FDAC: 0AFE0F7F
	v_mul_f32_e32 v124, v124, v180                             // 00000000FDB0: 0AF9697C
	v_mul_f32_e32 v125, v125, v181                             // 00000000FDB4: 0AFB6B7D
	v_mul_f32_e32 v126, v126, v182                             // 00000000FDB8: 0AFD6D7E
	v_mul_f32_e32 v127, v127, v183                             // 00000000FDBC: 0AFF6F7F
	v_mul_f32_e64 v4, -v128, s6                                // 00000000FDC0: D1050004 20000D80
	v_mul_f32_e64 v5, -v129, s6                                // 00000000FDC8: D1050005 20000D81
	v_mul_f32_e64 v6, -v130, s6                                // 00000000FDD0: D1050006 20000D82
	v_mul_f32_e64 v7, -v131, s6                                // 00000000FDD8: D1050007 20000D83
	v_exp_f32_e32 v4, v4                                       // 00000000FDE0: 7E084104
	v_exp_f32_e32 v5, v5                                       // 00000000FDE4: 7E0A4105
	v_exp_f32_e32 v6, v6                                       // 00000000FDE8: 7E0C4106
	v_exp_f32_e32 v7, v7                                       // 00000000FDEC: 7E0E4107
	v_add_f32_e64 v4, v4, 1.0                                  // 00000000FDF0: D1010004 0001E504
	v_add_f32_e64 v5, v5, 1.0                                  // 00000000FDF8: D1010005 0001E505
	v_add_f32_e64 v6, v6, 1.0                                  // 00000000FE00: D1010006 0001E506
	v_add_f32_e64 v7, v7, 1.0                                  // 00000000FE08: D1010007 0001E507
	v_rcp_f32_e32 v4, v4                                       // 00000000FE10: 7E084504
	v_rcp_f32_e32 v5, v5                                       // 00000000FE14: 7E0A4505
	v_rcp_f32_e32 v6, v6                                       // 00000000FE18: 7E0C4506
	v_rcp_f32_e32 v7, v7                                       // 00000000FE1C: 7E0E4507
	v_mul_f32_e32 v128, v128, v4                               // 00000000FE20: 0B000980
	v_mul_f32_e32 v129, v129, v5                               // 00000000FE24: 0B020B81
	v_mul_f32_e32 v130, v130, v6                               // 00000000FE28: 0B040D82
	v_mul_f32_e32 v131, v131, v7                               // 00000000FE2C: 0B060F83
	v_mul_f32_e32 v128, v128, v184                             // 00000000FE30: 0B017180
	v_mul_f32_e32 v129, v129, v185                             // 00000000FE34: 0B037381
	v_mul_f32_e32 v130, v130, v186                             // 00000000FE38: 0B057582
	v_mul_f32_e32 v131, v131, v187                             // 00000000FE3C: 0B077783

000000000000fe40 <label_3513>:
	s_cmp_eq_u32 s7, 0                                         // 00000000FE40: BF068007
	s_cbranch_scc0 label_352C                                  // 00000000FE44: BF840017
	v_and_b32_e32 v4, 15, v0                                   // 00000000FE48: 2608008F
	v_lshlrev_b32_e32 v4, 2, v4                                // 00000000FE4C: 24080882
	buffer_load_dword v30, v4, s[12:15], 0 offen               // 00000000FE50: E0501000 80031E04
	v_add_u32_e32 v4, 64, v4                                   // 00000000FE58: 680808C0
	buffer_load_dword v31, v4, s[12:15], 0 offen               // 00000000FE5C: E0501000 80031F04
	v_add_u32_e32 v4, 64, v4                                   // 00000000FE64: 680808C0
	buffer_load_dword v32, v4, s[12:15], 0 offen               // 00000000FE68: E0501000 80032004
	v_add_u32_e32 v4, 64, v4                                   // 00000000FE70: 680808C0
	buffer_load_dword v33, v4, s[12:15], 0 offen               // 00000000FE74: E0501000 80032104
	v_add_u32_e32 v4, 64, v4                                   // 00000000FE7C: 680808C0
	buffer_load_dword v34, v4, s[12:15], 0 offen               // 00000000FE80: E0501000 80032204
	v_add_u32_e32 v4, 64, v4                                   // 00000000FE88: 680808C0
	buffer_load_dword v35, v4, s[12:15], 0 offen               // 00000000FE8C: E0501000 80032304
	v_add_u32_e32 v4, 64, v4                                   // 00000000FE94: 680808C0
	buffer_load_dword v36, v4, s[12:15], 0 offen               // 00000000FE98: E0501000 80032404
	v_add_u32_e32 v4, 64, v4                                   // 00000000FEA0: 680808C0

000000000000fea4 <label_352C>:
	v_lshlrev_b32_e32 v4, 2, v0                                // 00000000FEA4: 24080082
	s_mul_i32 s60, 0x100, s7                                   // 00000000FEA8: 923C07FF 00000100
	v_add_u32_e32 v139, s60, v4                                // 00000000FEB0: 6916083C
	v_and_b32_e32 v4, 15, v0                                   // 00000000FEB4: 2608008F
	v_lshlrev_b32_e32 v140, 2, v4                              // 00000000FEB8: 25180882
	s_waitcnt lgkmcnt(0)                                       // 00000000FEBC: BF8CC07F
	s_barrier                                                  // 00000000FEC0: BF8A0000
	v_mov_b32_e32 v132, 0x358637bd                             // 00000000FEC4: 7F0802FF 358637BD
	v_max3_f32 v132, |v76|, |v77|, v132                        // 00000000FECC: D1D30384 06129B4C
	v_max3_f32 v132, |v78|, |v79|, v132                        // 00000000FED4: D1D30384 06129F4E
	v_max3_f32 v132, |v104|, |v105|, v132                      // 00000000FEDC: D1D30384 0612D368
	v_max3_f32 v132, |v106|, |v107|, v132                      // 00000000FEE4: D1D30384 0612D76A
	ds_write_b32 v139, v132                                    // 00000000FEEC: D81A0000 0000848B
	s_waitcnt lgkmcnt(0)                                       // 00000000FEF4: BF8CC07F
	s_barrier                                                  // 00000000FEF8: BF8A0000
	ds_read_b32 v4, v140                                       // 00000000FEFC: D86C0000 0400008C
	ds_read_b32 v5, v140 offset:64                             // 00000000FF04: D86C0040 0500008C
	ds_read_b32 v6, v140 offset:128                            // 00000000FF0C: D86C0080 0600008C
	ds_read_b32 v7, v140 offset:192                            // 00000000FF14: D86C00C0 0700008C
	ds_read_b32 v8, v140 offset:256                            // 00000000FF1C: D86C0100 0800008C
	ds_read_b32 v9, v140 offset:320                            // 00000000FF24: D86C0140 0900008C
	ds_read_b32 v10, v140 offset:384                           // 00000000FF2C: D86C0180 0A00008C
	ds_read_b32 v11, v140 offset:448                           // 00000000FF34: D86C01C0 0B00008C
	ds_read_b32 v12, v140 offset:512                           // 00000000FF3C: D86C0200 0C00008C
	ds_read_b32 v13, v140 offset:576                           // 00000000FF44: D86C0240 0D00008C
	ds_read_b32 v14, v140 offset:640                           // 00000000FF4C: D86C0280 0E00008C
	ds_read_b32 v15, v140 offset:704                           // 00000000FF54: D86C02C0 0F00008C
	ds_read_b32 v16, v140 offset:768                           // 00000000FF5C: D86C0300 1000008C
	ds_read_b32 v17, v140 offset:832                           // 00000000FF64: D86C0340 1100008C
	ds_read_b32 v18, v140 offset:896                           // 00000000FF6C: D86C0380 1200008C
	ds_read_b32 v19, v140 offset:960                           // 00000000FF74: D86C03C0 1300008C
	s_waitcnt lgkmcnt(0)                                       // 00000000FF7C: BF8CC07F
	s_barrier                                                  // 00000000FF80: BF8A0000
	v_max3_f32 v132, |v4|, |v5|, v132                          // 00000000FF84: D1D30384 06120B04
	v_max3_f32 v132, |v6|, |v7|, v132                          // 00000000FF8C: D1D30384 06120F06
	v_max3_f32 v132, |v8|, |v9|, v132                          // 00000000FF94: D1D30384 06121308
	v_max3_f32 v132, |v10|, |v11|, v132                        // 00000000FF9C: D1D30384 0612170A
	v_max3_f32 v132, |v12|, |v13|, v132                        // 00000000FFA4: D1D30384 06121B0C
	v_max3_f32 v132, |v14|, |v15|, v132                        // 00000000FFAC: D1D30384 06121F0E
	v_max3_f32 v132, |v16|, |v17|, v132                        // 00000000FFB4: D1D30384 06122310
	v_max3_f32 v132, |v18|, |v19|, v132                        // 00000000FFBC: D1D30384 06122712
	v_rcp_f32_e32 v132, v132                                   // 00000000FFC4: 7F084584
	v_mov_b32_e32 v4, 0x43700000                               // 00000000FFC8: 7E0802FF 43700000
	v_mul_f32_e32 v132, v4, v132                               // 00000000FFD0: 0B090904
	v_mov_b32_e32 v4, v132                                     // 00000000FFD4: 7E080384
	v_mov_b32_e32 v5, v4                                       // 00000000FFD8: 7E0A0304
	v_pk_mul_f32 v[76:77], v[4:5], v[76:77]                    // 00000000FFDC: D3B1404C 18029904
	v_pk_mul_f32 v[78:79], v[4:5], v[78:79]                    // 00000000FFE4: D3B1404E 18029D04
	v_cvt_pk_fp8_f32 v76, v76, v77                             // 00000000FFEC: D2A2004C 00029B4C
	v_cvt_pk_fp8_f32 v76, v78, v79 op_sel:[0,0,1]              // 00000000FFF4: D2A2404C 00029F4E
	v_pk_mul_f32 v[104:105], v[4:5], v[104:105]                // 00000000FFFC: D3B14068 1802D104
	v_pk_mul_f32 v[106:107], v[4:5], v[106:107]                // 000000010004: D3B1406A 1802D504
	v_cvt_pk_fp8_f32 v104, v104, v105                          // 00000001000C: D2A20068 0002D368
	v_cvt_pk_fp8_f32 v104, v106, v107 op_sel:[0,0,1]           // 000000010014: D2A24068 0002D76A
	v_rcp_f32_e32 v132, v132                                   // 00000001001C: 7F084584
	v_mov_b32_e32 v133, 0x358637bd                             // 000000010020: 7F0A02FF 358637BD
	v_max3_f32 v133, |v80|, |v81|, v133                        // 000000010028: D1D30385 0616A350
	v_max3_f32 v133, |v82|, |v83|, v133                        // 000000010030: D1D30385 0616A752
	v_max3_f32 v133, |v108|, |v109|, v133                      // 000000010038: D1D30385 0616DB6C
	v_max3_f32 v133, |v110|, |v111|, v133                      // 000000010040: D1D30385 0616DF6E
	ds_write_b32 v139, v133                                    // 000000010048: D81A0000 0000858B
	s_waitcnt lgkmcnt(0)                                       // 000000010050: BF8CC07F
	s_barrier                                                  // 000000010054: BF8A0000
	ds_read_b32 v4, v140                                       // 000000010058: D86C0000 0400008C
	ds_read_b32 v5, v140 offset:64                             // 000000010060: D86C0040 0500008C
	ds_read_b32 v6, v140 offset:128                            // 000000010068: D86C0080 0600008C
	ds_read_b32 v7, v140 offset:192                            // 000000010070: D86C00C0 0700008C
	ds_read_b32 v8, v140 offset:256                            // 000000010078: D86C0100 0800008C
	ds_read_b32 v9, v140 offset:320                            // 000000010080: D86C0140 0900008C
	ds_read_b32 v10, v140 offset:384                           // 000000010088: D86C0180 0A00008C
	ds_read_b32 v11, v140 offset:448                           // 000000010090: D86C01C0 0B00008C
	ds_read_b32 v12, v140 offset:512                           // 000000010098: D86C0200 0C00008C
	ds_read_b32 v13, v140 offset:576                           // 0000000100A0: D86C0240 0D00008C
	ds_read_b32 v14, v140 offset:640                           // 0000000100A8: D86C0280 0E00008C
	ds_read_b32 v15, v140 offset:704                           // 0000000100B0: D86C02C0 0F00008C
	ds_read_b32 v16, v140 offset:768                           // 0000000100B8: D86C0300 1000008C
	ds_read_b32 v17, v140 offset:832                           // 0000000100C0: D86C0340 1100008C
	ds_read_b32 v18, v140 offset:896                           // 0000000100C8: D86C0380 1200008C
	ds_read_b32 v19, v140 offset:960                           // 0000000100D0: D86C03C0 1300008C
	s_waitcnt lgkmcnt(0)                                       // 0000000100D8: BF8CC07F
	s_barrier                                                  // 0000000100DC: BF8A0000
	v_max3_f32 v133, |v4|, |v5|, v133                          // 0000000100E0: D1D30385 06160B04
	v_max3_f32 v133, |v6|, |v7|, v133                          // 0000000100E8: D1D30385 06160F06
	v_max3_f32 v133, |v8|, |v9|, v133                          // 0000000100F0: D1D30385 06161308
	v_max3_f32 v133, |v10|, |v11|, v133                        // 0000000100F8: D1D30385 0616170A
	v_max3_f32 v133, |v12|, |v13|, v133                        // 000000010100: D1D30385 06161B0C
	v_max3_f32 v133, |v14|, |v15|, v133                        // 000000010108: D1D30385 06161F0E
	v_max3_f32 v133, |v16|, |v17|, v133                        // 000000010110: D1D30385 06162310
	v_max3_f32 v133, |v18|, |v19|, v133                        // 000000010118: D1D30385 06162712
	v_rcp_f32_e32 v133, v133                                   // 000000010120: 7F0A4585
	v_mov_b32_e32 v4, 0x43700000                               // 000000010124: 7E0802FF 43700000
	v_mul_f32_e32 v133, v4, v133                               // 00000001012C: 0B0B0B04
	v_mov_b32_e32 v4, v133                                     // 000000010130: 7E080385
	v_mov_b32_e32 v5, v4                                       // 000000010134: 7E0A0304
	v_pk_mul_f32 v[80:81], v[4:5], v[80:81]                    // 000000010138: D3B14050 1802A104
	v_pk_mul_f32 v[82:83], v[4:5], v[82:83]                    // 000000010140: D3B14052 1802A504
	v_cvt_pk_fp8_f32 v80, v80, v81                             // 000000010148: D2A20050 0002A350
	v_cvt_pk_fp8_f32 v80, v82, v83 op_sel:[0,0,1]              // 000000010150: D2A24050 0002A752
	v_pk_mul_f32 v[108:109], v[4:5], v[108:109]                // 000000010158: D3B1406C 1802D904
	v_pk_mul_f32 v[110:111], v[4:5], v[110:111]                // 000000010160: D3B1406E 1802DD04
	v_cvt_pk_fp8_f32 v108, v108, v109                          // 000000010168: D2A2006C 0002DB6C
	v_cvt_pk_fp8_f32 v108, v110, v111 op_sel:[0,0,1]           // 000000010170: D2A2406C 0002DF6E
	v_rcp_f32_e32 v133, v133                                   // 000000010178: 7F0A4585
	v_mov_b32_e32 v134, 0x358637bd                             // 00000001017C: 7F0C02FF 358637BD
	v_max3_f32 v134, |v84|, |v85|, v134                        // 000000010184: D1D30386 061AAB54
	v_max3_f32 v134, |v86|, |v87|, v134                        // 00000001018C: D1D30386 061AAF56
	v_max3_f32 v134, |v112|, |v113|, v134                      // 000000010194: D1D30386 061AE370
	v_max3_f32 v134, |v114|, |v115|, v134                      // 00000001019C: D1D30386 061AE772
	ds_write_b32 v139, v134                                    // 0000000101A4: D81A0000 0000868B
	s_waitcnt lgkmcnt(0)                                       // 0000000101AC: BF8CC07F
	s_barrier                                                  // 0000000101B0: BF8A0000
	ds_read_b32 v4, v140                                       // 0000000101B4: D86C0000 0400008C
	ds_read_b32 v5, v140 offset:64                             // 0000000101BC: D86C0040 0500008C
	ds_read_b32 v6, v140 offset:128                            // 0000000101C4: D86C0080 0600008C
	ds_read_b32 v7, v140 offset:192                            // 0000000101CC: D86C00C0 0700008C
	ds_read_b32 v8, v140 offset:256                            // 0000000101D4: D86C0100 0800008C
	ds_read_b32 v9, v140 offset:320                            // 0000000101DC: D86C0140 0900008C
	ds_read_b32 v10, v140 offset:384                           // 0000000101E4: D86C0180 0A00008C
	ds_read_b32 v11, v140 offset:448                           // 0000000101EC: D86C01C0 0B00008C
	ds_read_b32 v12, v140 offset:512                           // 0000000101F4: D86C0200 0C00008C
	ds_read_b32 v13, v140 offset:576                           // 0000000101FC: D86C0240 0D00008C
	ds_read_b32 v14, v140 offset:640                           // 000000010204: D86C0280 0E00008C
	ds_read_b32 v15, v140 offset:704                           // 00000001020C: D86C02C0 0F00008C
	ds_read_b32 v16, v140 offset:768                           // 000000010214: D86C0300 1000008C
	ds_read_b32 v17, v140 offset:832                           // 00000001021C: D86C0340 1100008C
	ds_read_b32 v18, v140 offset:896                           // 000000010224: D86C0380 1200008C
	ds_read_b32 v19, v140 offset:960                           // 00000001022C: D86C03C0 1300008C
	s_waitcnt lgkmcnt(0)                                       // 000000010234: BF8CC07F
	s_barrier                                                  // 000000010238: BF8A0000
	v_max3_f32 v134, |v4|, |v5|, v134                          // 00000001023C: D1D30386 061A0B04
	v_max3_f32 v134, |v6|, |v7|, v134                          // 000000010244: D1D30386 061A0F06
	v_max3_f32 v134, |v8|, |v9|, v134                          // 00000001024C: D1D30386 061A1308
	v_max3_f32 v134, |v10|, |v11|, v134                        // 000000010254: D1D30386 061A170A
	v_max3_f32 v134, |v12|, |v13|, v134                        // 00000001025C: D1D30386 061A1B0C
	v_max3_f32 v134, |v14|, |v15|, v134                        // 000000010264: D1D30386 061A1F0E
	v_max3_f32 v134, |v16|, |v17|, v134                        // 00000001026C: D1D30386 061A2310
	v_max3_f32 v134, |v18|, |v19|, v134                        // 000000010274: D1D30386 061A2712
	v_rcp_f32_e32 v134, v134                                   // 00000001027C: 7F0C4586
	v_mov_b32_e32 v4, 0x43700000                               // 000000010280: 7E0802FF 43700000
	v_mul_f32_e32 v134, v4, v134                               // 000000010288: 0B0D0D04
	v_mov_b32_e32 v4, v134                                     // 00000001028C: 7E080386
	v_mov_b32_e32 v5, v4                                       // 000000010290: 7E0A0304
	v_pk_mul_f32 v[84:85], v[4:5], v[84:85]                    // 000000010294: D3B14054 1802A904
	v_pk_mul_f32 v[86:87], v[4:5], v[86:87]                    // 00000001029C: D3B14056 1802AD04
	v_cvt_pk_fp8_f32 v84, v84, v85                             // 0000000102A4: D2A20054 0002AB54
	v_cvt_pk_fp8_f32 v84, v86, v87 op_sel:[0,0,1]              // 0000000102AC: D2A24054 0002AF56
	v_pk_mul_f32 v[112:113], v[4:5], v[112:113]                // 0000000102B4: D3B14070 1802E104
	v_pk_mul_f32 v[114:115], v[4:5], v[114:115]                // 0000000102BC: D3B14072 1802E504
	v_cvt_pk_fp8_f32 v112, v112, v113                          // 0000000102C4: D2A20070 0002E370
	v_cvt_pk_fp8_f32 v112, v114, v115 op_sel:[0,0,1]           // 0000000102CC: D2A24070 0002E772
	v_rcp_f32_e32 v134, v134                                   // 0000000102D4: 7F0C4586
	v_mov_b32_e32 v135, 0x358637bd                             // 0000000102D8: 7F0E02FF 358637BD
	v_max3_f32 v135, |v88|, |v89|, v135                        // 0000000102E0: D1D30387 061EB358
	v_max3_f32 v135, |v90|, |v91|, v135                        // 0000000102E8: D1D30387 061EB75A
	v_max3_f32 v135, |v116|, |v117|, v135                      // 0000000102F0: D1D30387 061EEB74
	v_max3_f32 v135, |v118|, |v119|, v135                      // 0000000102F8: D1D30387 061EEF76
	ds_write_b32 v139, v135                                    // 000000010300: D81A0000 0000878B
	s_waitcnt lgkmcnt(0)                                       // 000000010308: BF8CC07F
	s_barrier                                                  // 00000001030C: BF8A0000
	ds_read_b32 v4, v140                                       // 000000010310: D86C0000 0400008C
	ds_read_b32 v5, v140 offset:64                             // 000000010318: D86C0040 0500008C
	ds_read_b32 v6, v140 offset:128                            // 000000010320: D86C0080 0600008C
	ds_read_b32 v7, v140 offset:192                            // 000000010328: D86C00C0 0700008C
	ds_read_b32 v8, v140 offset:256                            // 000000010330: D86C0100 0800008C
	ds_read_b32 v9, v140 offset:320                            // 000000010338: D86C0140 0900008C
	ds_read_b32 v10, v140 offset:384                           // 000000010340: D86C0180 0A00008C
	ds_read_b32 v11, v140 offset:448                           // 000000010348: D86C01C0 0B00008C
	ds_read_b32 v12, v140 offset:512                           // 000000010350: D86C0200 0C00008C
	ds_read_b32 v13, v140 offset:576                           // 000000010358: D86C0240 0D00008C
	ds_read_b32 v14, v140 offset:640                           // 000000010360: D86C0280 0E00008C
	ds_read_b32 v15, v140 offset:704                           // 000000010368: D86C02C0 0F00008C
	ds_read_b32 v16, v140 offset:768                           // 000000010370: D86C0300 1000008C
	ds_read_b32 v17, v140 offset:832                           // 000000010378: D86C0340 1100008C
	ds_read_b32 v18, v140 offset:896                           // 000000010380: D86C0380 1200008C
	ds_read_b32 v19, v140 offset:960                           // 000000010388: D86C03C0 1300008C
	s_waitcnt lgkmcnt(0)                                       // 000000010390: BF8CC07F
	s_barrier                                                  // 000000010394: BF8A0000
	v_max3_f32 v135, |v4|, |v5|, v135                          // 000000010398: D1D30387 061E0B04
	v_max3_f32 v135, |v6|, |v7|, v135                          // 0000000103A0: D1D30387 061E0F06
	v_max3_f32 v135, |v8|, |v9|, v135                          // 0000000103A8: D1D30387 061E1308
	v_max3_f32 v135, |v10|, |v11|, v135                        // 0000000103B0: D1D30387 061E170A
	v_max3_f32 v135, |v12|, |v13|, v135                        // 0000000103B8: D1D30387 061E1B0C
	v_max3_f32 v135, |v14|, |v15|, v135                        // 0000000103C0: D1D30387 061E1F0E
	v_max3_f32 v135, |v16|, |v17|, v135                        // 0000000103C8: D1D30387 061E2310
	v_max3_f32 v135, |v18|, |v19|, v135                        // 0000000103D0: D1D30387 061E2712
	v_rcp_f32_e32 v135, v135                                   // 0000000103D8: 7F0E4587
	v_mov_b32_e32 v4, 0x43700000                               // 0000000103DC: 7E0802FF 43700000
	v_mul_f32_e32 v135, v4, v135                               // 0000000103E4: 0B0F0F04
	v_mov_b32_e32 v4, v135                                     // 0000000103E8: 7E080387
	v_mov_b32_e32 v5, v4                                       // 0000000103EC: 7E0A0304
	v_pk_mul_f32 v[88:89], v[4:5], v[88:89]                    // 0000000103F0: D3B14058 1802B104
	v_pk_mul_f32 v[90:91], v[4:5], v[90:91]                    // 0000000103F8: D3B1405A 1802B504
	v_cvt_pk_fp8_f32 v88, v88, v89                             // 000000010400: D2A20058 0002B358
	v_cvt_pk_fp8_f32 v88, v90, v91 op_sel:[0,0,1]              // 000000010408: D2A24058 0002B75A
	v_pk_mul_f32 v[116:117], v[4:5], v[116:117]                // 000000010410: D3B14074 1802E904
	v_pk_mul_f32 v[118:119], v[4:5], v[118:119]                // 000000010418: D3B14076 1802ED04
	v_cvt_pk_fp8_f32 v116, v116, v117                          // 000000010420: D2A20074 0002EB74
	v_cvt_pk_fp8_f32 v116, v118, v119 op_sel:[0,0,1]           // 000000010428: D2A24074 0002EF76
	v_rcp_f32_e32 v135, v135                                   // 000000010430: 7F0E4587
	v_mov_b32_e32 v136, 0x358637bd                             // 000000010434: 7F1002FF 358637BD
	v_max3_f32 v136, |v92|, |v93|, v136                        // 00000001043C: D1D30388 0622BB5C
	v_max3_f32 v136, |v94|, |v95|, v136                        // 000000010444: D1D30388 0622BF5E
	v_max3_f32 v136, |v120|, |v121|, v136                      // 00000001044C: D1D30388 0622F378
	v_max3_f32 v136, |v122|, |v123|, v136                      // 000000010454: D1D30388 0622F77A
	ds_write_b32 v139, v136                                    // 00000001045C: D81A0000 0000888B
	s_waitcnt lgkmcnt(0)                                       // 000000010464: BF8CC07F
	s_barrier                                                  // 000000010468: BF8A0000
	ds_read_b32 v4, v140                                       // 00000001046C: D86C0000 0400008C
	ds_read_b32 v5, v140 offset:64                             // 000000010474: D86C0040 0500008C
	ds_read_b32 v6, v140 offset:128                            // 00000001047C: D86C0080 0600008C
	ds_read_b32 v7, v140 offset:192                            // 000000010484: D86C00C0 0700008C
	ds_read_b32 v8, v140 offset:256                            // 00000001048C: D86C0100 0800008C
	ds_read_b32 v9, v140 offset:320                            // 000000010494: D86C0140 0900008C
	ds_read_b32 v10, v140 offset:384                           // 00000001049C: D86C0180 0A00008C
	ds_read_b32 v11, v140 offset:448                           // 0000000104A4: D86C01C0 0B00008C
	ds_read_b32 v12, v140 offset:512                           // 0000000104AC: D86C0200 0C00008C
	ds_read_b32 v13, v140 offset:576                           // 0000000104B4: D86C0240 0D00008C
	ds_read_b32 v14, v140 offset:640                           // 0000000104BC: D86C0280 0E00008C
	ds_read_b32 v15, v140 offset:704                           // 0000000104C4: D86C02C0 0F00008C
	ds_read_b32 v16, v140 offset:768                           // 0000000104CC: D86C0300 1000008C
	ds_read_b32 v17, v140 offset:832                           // 0000000104D4: D86C0340 1100008C
	ds_read_b32 v18, v140 offset:896                           // 0000000104DC: D86C0380 1200008C
	ds_read_b32 v19, v140 offset:960                           // 0000000104E4: D86C03C0 1300008C
	s_waitcnt lgkmcnt(0)                                       // 0000000104EC: BF8CC07F
	s_barrier                                                  // 0000000104F0: BF8A0000
	v_max3_f32 v136, |v4|, |v5|, v136                          // 0000000104F4: D1D30388 06220B04
	v_max3_f32 v136, |v6|, |v7|, v136                          // 0000000104FC: D1D30388 06220F06
	v_max3_f32 v136, |v8|, |v9|, v136                          // 000000010504: D1D30388 06221308
	v_max3_f32 v136, |v10|, |v11|, v136                        // 00000001050C: D1D30388 0622170A
	v_max3_f32 v136, |v12|, |v13|, v136                        // 000000010514: D1D30388 06221B0C
	v_max3_f32 v136, |v14|, |v15|, v136                        // 00000001051C: D1D30388 06221F0E
	v_max3_f32 v136, |v16|, |v17|, v136                        // 000000010524: D1D30388 06222310
	v_max3_f32 v136, |v18|, |v19|, v136                        // 00000001052C: D1D30388 06222712
	v_rcp_f32_e32 v136, v136                                   // 000000010534: 7F104588
	v_mov_b32_e32 v4, 0x43700000                               // 000000010538: 7E0802FF 43700000
	v_mul_f32_e32 v136, v4, v136                               // 000000010540: 0B111104
	v_mov_b32_e32 v4, v136                                     // 000000010544: 7E080388
	v_mov_b32_e32 v5, v4                                       // 000000010548: 7E0A0304
	v_pk_mul_f32 v[92:93], v[4:5], v[92:93]                    // 00000001054C: D3B1405C 1802B904
	v_pk_mul_f32 v[94:95], v[4:5], v[94:95]                    // 000000010554: D3B1405E 1802BD04
	v_cvt_pk_fp8_f32 v92, v92, v93                             // 00000001055C: D2A2005C 0002BB5C
	v_cvt_pk_fp8_f32 v92, v94, v95 op_sel:[0,0,1]              // 000000010564: D2A2405C 0002BF5E
	v_pk_mul_f32 v[120:121], v[4:5], v[120:121]                // 00000001056C: D3B14078 1802F104
	v_pk_mul_f32 v[122:123], v[4:5], v[122:123]                // 000000010574: D3B1407A 1802F504
	v_cvt_pk_fp8_f32 v120, v120, v121                          // 00000001057C: D2A20078 0002F378
	v_cvt_pk_fp8_f32 v120, v122, v123 op_sel:[0,0,1]           // 000000010584: D2A24078 0002F77A
	v_rcp_f32_e32 v136, v136                                   // 00000001058C: 7F104588
	v_mov_b32_e32 v137, 0x358637bd                             // 000000010590: 7F1202FF 358637BD
	v_max3_f32 v137, |v96|, |v97|, v137                        // 000000010598: D1D30389 0626C360
	v_max3_f32 v137, |v98|, |v99|, v137                        // 0000000105A0: D1D30389 0626C762
	v_max3_f32 v137, |v124|, |v125|, v137                      // 0000000105A8: D1D30389 0626FB7C
	v_max3_f32 v137, |v126|, |v127|, v137                      // 0000000105B0: D1D30389 0626FF7E
	ds_write_b32 v139, v137                                    // 0000000105B8: D81A0000 0000898B
	s_waitcnt lgkmcnt(0)                                       // 0000000105C0: BF8CC07F
	s_barrier                                                  // 0000000105C4: BF8A0000
	ds_read_b32 v4, v140                                       // 0000000105C8: D86C0000 0400008C
	ds_read_b32 v5, v140 offset:64                             // 0000000105D0: D86C0040 0500008C
	ds_read_b32 v6, v140 offset:128                            // 0000000105D8: D86C0080 0600008C
	ds_read_b32 v7, v140 offset:192                            // 0000000105E0: D86C00C0 0700008C
	ds_read_b32 v8, v140 offset:256                            // 0000000105E8: D86C0100 0800008C
	ds_read_b32 v9, v140 offset:320                            // 0000000105F0: D86C0140 0900008C
	ds_read_b32 v10, v140 offset:384                           // 0000000105F8: D86C0180 0A00008C
	ds_read_b32 v11, v140 offset:448                           // 000000010600: D86C01C0 0B00008C
	ds_read_b32 v12, v140 offset:512                           // 000000010608: D86C0200 0C00008C
	ds_read_b32 v13, v140 offset:576                           // 000000010610: D86C0240 0D00008C
	ds_read_b32 v14, v140 offset:640                           // 000000010618: D86C0280 0E00008C
	ds_read_b32 v15, v140 offset:704                           // 000000010620: D86C02C0 0F00008C
	ds_read_b32 v16, v140 offset:768                           // 000000010628: D86C0300 1000008C
	ds_read_b32 v17, v140 offset:832                           // 000000010630: D86C0340 1100008C
	ds_read_b32 v18, v140 offset:896                           // 000000010638: D86C0380 1200008C
	ds_read_b32 v19, v140 offset:960                           // 000000010640: D86C03C0 1300008C
	s_waitcnt lgkmcnt(0)                                       // 000000010648: BF8CC07F
	s_barrier                                                  // 00000001064C: BF8A0000
	v_max3_f32 v137, |v4|, |v5|, v137                          // 000000010650: D1D30389 06260B04
	v_max3_f32 v137, |v6|, |v7|, v137                          // 000000010658: D1D30389 06260F06
	v_max3_f32 v137, |v8|, |v9|, v137                          // 000000010660: D1D30389 06261308
	v_max3_f32 v137, |v10|, |v11|, v137                        // 000000010668: D1D30389 0626170A
	v_max3_f32 v137, |v12|, |v13|, v137                        // 000000010670: D1D30389 06261B0C
	v_max3_f32 v137, |v14|, |v15|, v137                        // 000000010678: D1D30389 06261F0E
	v_max3_f32 v137, |v16|, |v17|, v137                        // 000000010680: D1D30389 06262310
	v_max3_f32 v137, |v18|, |v19|, v137                        // 000000010688: D1D30389 06262712
	v_rcp_f32_e32 v137, v137                                   // 000000010690: 7F124589
	v_mov_b32_e32 v4, 0x43700000                               // 000000010694: 7E0802FF 43700000
	v_mul_f32_e32 v137, v4, v137                               // 00000001069C: 0B131304
	v_mov_b32_e32 v4, v137                                     // 0000000106A0: 7E080389
	v_mov_b32_e32 v5, v4                                       // 0000000106A4: 7E0A0304
	v_pk_mul_f32 v[96:97], v[4:5], v[96:97]                    // 0000000106A8: D3B14060 1802C104
	v_pk_mul_f32 v[98:99], v[4:5], v[98:99]                    // 0000000106B0: D3B14062 1802C504
	v_cvt_pk_fp8_f32 v96, v96, v97                             // 0000000106B8: D2A20060 0002C360
	v_cvt_pk_fp8_f32 v96, v98, v99 op_sel:[0,0,1]              // 0000000106C0: D2A24060 0002C762
	v_pk_mul_f32 v[124:125], v[4:5], v[124:125]                // 0000000106C8: D3B1407C 1802F904
	v_pk_mul_f32 v[126:127], v[4:5], v[126:127]                // 0000000106D0: D3B1407E 1802FD04
	v_cvt_pk_fp8_f32 v124, v124, v125                          // 0000000106D8: D2A2007C 0002FB7C
	v_cvt_pk_fp8_f32 v124, v126, v127 op_sel:[0,0,1]           // 0000000106E0: D2A2407C 0002FF7E
	v_rcp_f32_e32 v137, v137                                   // 0000000106E8: 7F124589
	v_mov_b32_e32 v138, 0x358637bd                             // 0000000106EC: 7F1402FF 358637BD
	v_max3_f32 v138, |v100|, |v101|, v138                      // 0000000106F4: D1D3038A 062ACB64
	v_max3_f32 v138, |v102|, |v103|, v138                      // 0000000106FC: D1D3038A 062ACF66
	v_max3_f32 v138, |v128|, |v129|, v138                      // 000000010704: D1D3038A 062B0380
	v_max3_f32 v138, |v130|, |v131|, v138                      // 00000001070C: D1D3038A 062B0782
	ds_write_b32 v139, v138                                    // 000000010714: D81A0000 00008A8B
	s_waitcnt lgkmcnt(0)                                       // 00000001071C: BF8CC07F
	s_barrier                                                  // 000000010720: BF8A0000
	ds_read_b32 v4, v140                                       // 000000010724: D86C0000 0400008C
	ds_read_b32 v5, v140 offset:64                             // 00000001072C: D86C0040 0500008C
	ds_read_b32 v6, v140 offset:128                            // 000000010734: D86C0080 0600008C
	ds_read_b32 v7, v140 offset:192                            // 00000001073C: D86C00C0 0700008C
	ds_read_b32 v8, v140 offset:256                            // 000000010744: D86C0100 0800008C
	ds_read_b32 v9, v140 offset:320                            // 00000001074C: D86C0140 0900008C
	ds_read_b32 v10, v140 offset:384                           // 000000010754: D86C0180 0A00008C
	ds_read_b32 v11, v140 offset:448                           // 00000001075C: D86C01C0 0B00008C
	ds_read_b32 v12, v140 offset:512                           // 000000010764: D86C0200 0C00008C
	ds_read_b32 v13, v140 offset:576                           // 00000001076C: D86C0240 0D00008C
	ds_read_b32 v14, v140 offset:640                           // 000000010774: D86C0280 0E00008C
	ds_read_b32 v15, v140 offset:704                           // 00000001077C: D86C02C0 0F00008C
	ds_read_b32 v16, v140 offset:768                           // 000000010784: D86C0300 1000008C
	ds_read_b32 v17, v140 offset:832                           // 00000001078C: D86C0340 1100008C
	ds_read_b32 v18, v140 offset:896                           // 000000010794: D86C0380 1200008C
	ds_read_b32 v19, v140 offset:960                           // 00000001079C: D86C03C0 1300008C
	s_waitcnt lgkmcnt(0)                                       // 0000000107A4: BF8CC07F
	s_barrier                                                  // 0000000107A8: BF8A0000
	v_max3_f32 v138, |v4|, |v5|, v138                          // 0000000107AC: D1D3038A 062A0B04
	v_max3_f32 v138, |v6|, |v7|, v138                          // 0000000107B4: D1D3038A 062A0F06
	v_max3_f32 v138, |v8|, |v9|, v138                          // 0000000107BC: D1D3038A 062A1308
	v_max3_f32 v138, |v10|, |v11|, v138                        // 0000000107C4: D1D3038A 062A170A
	v_max3_f32 v138, |v12|, |v13|, v138                        // 0000000107CC: D1D3038A 062A1B0C
	v_max3_f32 v138, |v14|, |v15|, v138                        // 0000000107D4: D1D3038A 062A1F0E
	v_max3_f32 v138, |v16|, |v17|, v138                        // 0000000107DC: D1D3038A 062A2310
	v_max3_f32 v138, |v18|, |v19|, v138                        // 0000000107E4: D1D3038A 062A2712
	v_rcp_f32_e32 v138, v138                                   // 0000000107EC: 7F14458A
	v_mov_b32_e32 v4, 0x43700000                               // 0000000107F0: 7E0802FF 43700000
	v_mul_f32_e32 v138, v4, v138                               // 0000000107F8: 0B151504
	v_mov_b32_e32 v4, v138                                     // 0000000107FC: 7E08038A
	v_mov_b32_e32 v5, v4                                       // 000000010800: 7E0A0304
	v_pk_mul_f32 v[100:101], v[4:5], v[100:101]                // 000000010804: D3B14064 1802C904
	v_pk_mul_f32 v[102:103], v[4:5], v[102:103]                // 00000001080C: D3B14066 1802CD04
	v_cvt_pk_fp8_f32 v100, v100, v101                          // 000000010814: D2A20064 0002CB64
	v_cvt_pk_fp8_f32 v100, v102, v103 op_sel:[0,0,1]           // 00000001081C: D2A24064 0002CF66
	v_pk_mul_f32 v[128:129], v[4:5], v[128:129]                // 000000010824: D3B14080 18030104
	v_pk_mul_f32 v[130:131], v[4:5], v[130:131]                // 00000001082C: D3B14082 18030504
	v_cvt_pk_fp8_f32 v128, v128, v129                          // 000000010834: D2A20080 00030380
	v_cvt_pk_fp8_f32 v128, v130, v131 op_sel:[0,0,1]           // 00000001083C: D2A24080 00030782
	v_rcp_f32_e32 v138, v138                                   // 000000010844: 7F14458A
	v_lshrrev_b32_e32 v4, 5, v0                                // 000000010848: 20080085
	v_mul_lo_u32 v20, 34, v4                                   // 00000001084C: D2850014 000208A2
	v_and_b32_e32 v4, 31, v0                                   // 000000010854: 2608009F
	v_lshrrev_b32_e32 v5, 4, v4                                // 000000010858: 200A0884
	v_add_u32_e32 v20, v5, v20                                 // 00000001085C: 68282905
	v_and_b32_e32 v4, 15, v0                                   // 000000010860: 2608008F
	v_mul_lo_u32 v5, 2, v4                                     // 000000010864: D2850005 00020882
	v_add_u32_e32 v20, v5, v20                                 // 00000001086C: 68282905
	s_mul_i32 s60, s7, 0x44                                    // 000000010870: 923CFF07 00000044
	v_add_u32_e32 v20, s60, v20                                // 000000010878: 6828283C
	v_lshlrev_b32_e32 v20, 2, v20                              // 00000001087C: 24282882
	ds_write_b32 v20, v76                                      // 000000010880: D81A0000 00004C14
	ds_write_b32 v20, v80 offset:2176                          // 000000010888: D81A0880 00005014
	ds_write_b32 v20, v84 offset:4352                          // 000000010890: D81A1100 00005414
	ds_write_b32 v20, v88 offset:6528                          // 000000010898: D81A1980 00005814
	ds_write_b32 v20, v92 offset:8704                          // 0000000108A0: D81A2200 00005C14
	ds_write_b32 v20, v96 offset:10880                         // 0000000108A8: D81A2A80 00006014
	ds_write_b32 v20, v100 offset:13056                        // 0000000108B0: D81A3300 00006414
	ds_write_b32 v20, v104 offset:1088                         // 0000000108B8: D81A0440 00006814
	ds_write_b32 v20, v108 offset:3264                         // 0000000108C0: D81A0CC0 00006C14
	ds_write_b32 v20, v112 offset:5440                         // 0000000108C8: D81A1540 00007014
	ds_write_b32 v20, v116 offset:7616                         // 0000000108D0: D81A1DC0 00007414
	ds_write_b32 v20, v120 offset:9792                         // 0000000108D8: D81A2640 00007814
	ds_write_b32 v20, v124 offset:11968                        // 0000000108E0: D81A2EC0 00007C14
	ds_write_b32 v20, v128 offset:14144                        // 0000000108E8: D81A3740 00008014
	v_lshrrev_b32_e32 v4, 5, v0                                // 0000000108F0: 20080085
	v_xor_b32_e32 v5, 1, v4                                    // 0000000108F4: 2A0A0881
	s_mul_i32 s60, s65, 1                                      // 0000000108F8: 923C8141
	s_cmp_eq_u32 s88, 0                                        // 0000000108FC: BF068058
	s_cselect_b32 s61, 1, 8                                    // 000000010900: 853D8881
	s_mul_i32 s60, s61, s60                                    // 000000010904: 923C3C3D
	v_readlane_b32 s82, v3, 0                                  // 000000010908: D2890052 00010103
	s_lshr_b32 s61, s82, 24                                    // 000000010910: 8F3D9852
	s_and_b32 s82, s82, 0xffffff                               // 000000010914: 8652FF52 00FFFFFF
	s_mul_i32 s82, s82, s71                                    // 00000001091C: 92524752
	s_mul_i32 s61, s60, s61                                    // 000000010920: 923D3D3C
	s_add_u32 s82, s82, s61                                    // 000000010924: 80523D52
	v_mul_lo_u32 v6, v5, s82                                   // 000000010928: D2850006 0000A505
	v_readlane_b32 s82, v3, 1                                  // 000000010930: D2890052 00010303
	s_lshr_b32 s61, s82, 24                                    // 000000010938: 8F3D9852
	s_and_b32 s82, s82, 0xffffff                               // 00000001093C: 8652FF52 00FFFFFF
	s_mul_i32 s82, s82, s71                                    // 000000010944: 92524752
	s_mul_i32 s61, s60, s61                                    // 000000010948: 923D3D3C
	s_add_u32 s82, s82, s61                                    // 00000001094C: 80523D52
	v_mul_lo_u32 v7, v4, s82                                   // 000000010950: D2850007 0000A504
	v_add_u32_e32 v58, v6, v7                                  // 000000010958: 68740F06
	v_readlane_b32 s82, v3, 2                                  // 00000001095C: D2890052 00010503
	s_lshr_b32 s61, s82, 24                                    // 000000010964: 8F3D9852
	s_and_b32 s82, s82, 0xffffff                               // 000000010968: 8652FF52 00FFFFFF
	s_mul_i32 s82, s82, s71                                    // 000000010970: 92524752
	s_mul_i32 s61, s60, s61                                    // 000000010974: 923D3D3C
	s_add_u32 s82, s82, s61                                    // 000000010978: 80523D52
	v_mul_lo_u32 v6, v5, s82                                   // 00000001097C: D2850006 0000A505
	v_readlane_b32 s82, v3, 3                                  // 000000010984: D2890052 00010703
	s_lshr_b32 s61, s82, 24                                    // 00000001098C: 8F3D9852
	s_and_b32 s82, s82, 0xffffff                               // 000000010990: 8652FF52 00FFFFFF
	s_mul_i32 s82, s82, s71                                    // 000000010998: 92524752
	s_mul_i32 s61, s60, s61                                    // 00000001099C: 923D3D3C
	s_add_u32 s82, s82, s61                                    // 0000000109A0: 80523D52
	v_mul_lo_u32 v7, v4, s82                                   // 0000000109A4: D2850007 0000A504
	v_add_u32_e32 v59, v6, v7                                  // 0000000109AC: 68760F06
	v_readlane_b32 s82, v3, 4                                  // 0000000109B0: D2890052 00010903
	s_lshr_b32 s61, s82, 24                                    // 0000000109B8: 8F3D9852
	s_and_b32 s82, s82, 0xffffff                               // 0000000109BC: 8652FF52 00FFFFFF
	s_mul_i32 s82, s82, s71                                    // 0000000109C4: 92524752
	s_mul_i32 s61, s60, s61                                    // 0000000109C8: 923D3D3C
	s_add_u32 s82, s82, s61                                    // 0000000109CC: 80523D52
	v_mul_lo_u32 v6, v5, s82                                   // 0000000109D0: D2850006 0000A505
	v_readlane_b32 s82, v3, 5                                  // 0000000109D8: D2890052 00010B03
	s_lshr_b32 s61, s82, 24                                    // 0000000109E0: 8F3D9852
	s_and_b32 s82, s82, 0xffffff                               // 0000000109E4: 8652FF52 00FFFFFF
	s_mul_i32 s82, s82, s71                                    // 0000000109EC: 92524752
	s_mul_i32 s61, s60, s61                                    // 0000000109F0: 923D3D3C
	s_add_u32 s82, s82, s61                                    // 0000000109F4: 80523D52
	v_mul_lo_u32 v7, v4, s82                                   // 0000000109F8: D2850007 0000A504
	v_add_u32_e32 v60, v6, v7                                  // 000000010A00: 68780F06
	v_readlane_b32 s82, v3, 6                                  // 000000010A04: D2890052 00010D03
	s_lshr_b32 s61, s82, 24                                    // 000000010A0C: 8F3D9852
	s_and_b32 s82, s82, 0xffffff                               // 000000010A10: 8652FF52 00FFFFFF
	s_mul_i32 s82, s82, s71                                    // 000000010A18: 92524752
	s_mul_i32 s61, s60, s61                                    // 000000010A1C: 923D3D3C
	s_add_u32 s82, s82, s61                                    // 000000010A20: 80523D52
	v_mul_lo_u32 v6, v5, s82                                   // 000000010A24: D2850006 0000A505
	v_readlane_b32 s82, v3, 7                                  // 000000010A2C: D2890052 00010F03
	s_lshr_b32 s61, s82, 24                                    // 000000010A34: 8F3D9852
	s_and_b32 s82, s82, 0xffffff                               // 000000010A38: 8652FF52 00FFFFFF
	s_mul_i32 s82, s82, s71                                    // 000000010A40: 92524752
	s_mul_i32 s61, s60, s61                                    // 000000010A44: 923D3D3C
	s_add_u32 s82, s82, s61                                    // 000000010A48: 80523D52
	v_mul_lo_u32 v7, v4, s82                                   // 000000010A4C: D2850007 0000A504
	v_add_u32_e32 v61, v6, v7                                  // 000000010A54: 687A0F06
	v_readlane_b32 s82, v3, 8                                  // 000000010A58: D2890052 00011103
	s_lshr_b32 s61, s82, 24                                    // 000000010A60: 8F3D9852
	s_and_b32 s82, s82, 0xffffff                               // 000000010A64: 8652FF52 00FFFFFF
	s_mul_i32 s82, s82, s71                                    // 000000010A6C: 92524752
	s_mul_i32 s61, s60, s61                                    // 000000010A70: 923D3D3C
	s_add_u32 s82, s82, s61                                    // 000000010A74: 80523D52
	v_mul_lo_u32 v6, v5, s82                                   // 000000010A78: D2850006 0000A505
	v_readlane_b32 s82, v3, 9                                  // 000000010A80: D2890052 00011303
	s_lshr_b32 s61, s82, 24                                    // 000000010A88: 8F3D9852
	s_and_b32 s82, s82, 0xffffff                               // 000000010A8C: 8652FF52 00FFFFFF
	s_mul_i32 s82, s82, s71                                    // 000000010A94: 92524752
	s_mul_i32 s61, s60, s61                                    // 000000010A98: 923D3D3C
	s_add_u32 s82, s82, s61                                    // 000000010A9C: 80523D52
	v_mul_lo_u32 v7, v4, s82                                   // 000000010AA0: D2850007 0000A504
	v_add_u32_e32 v62, v6, v7                                  // 000000010AA8: 687C0F06
	v_readlane_b32 s82, v3, 10                                 // 000000010AAC: D2890052 00011503
	s_lshr_b32 s61, s82, 24                                    // 000000010AB4: 8F3D9852
	s_and_b32 s82, s82, 0xffffff                               // 000000010AB8: 8652FF52 00FFFFFF
	s_mul_i32 s82, s82, s71                                    // 000000010AC0: 92524752
	s_mul_i32 s61, s60, s61                                    // 000000010AC4: 923D3D3C
	s_add_u32 s82, s82, s61                                    // 000000010AC8: 80523D52
	v_mul_lo_u32 v6, v5, s82                                   // 000000010ACC: D2850006 0000A505
	v_readlane_b32 s82, v3, 11                                 // 000000010AD4: D2890052 00011703
	s_lshr_b32 s61, s82, 24                                    // 000000010ADC: 8F3D9852
	s_and_b32 s82, s82, 0xffffff                               // 000000010AE0: 8652FF52 00FFFFFF
	s_mul_i32 s82, s82, s71                                    // 000000010AE8: 92524752
	s_mul_i32 s61, s60, s61                                    // 000000010AEC: 923D3D3C
	s_add_u32 s82, s82, s61                                    // 000000010AF0: 80523D52
	v_mul_lo_u32 v7, v4, s82                                   // 000000010AF4: D2850007 0000A504
	v_add_u32_e32 v63, v6, v7                                  // 000000010AFC: 687E0F06
	v_readlane_b32 s82, v3, 12                                 // 000000010B00: D2890052 00011903
	s_lshr_b32 s61, s82, 24                                    // 000000010B08: 8F3D9852
	s_and_b32 s82, s82, 0xffffff                               // 000000010B0C: 8652FF52 00FFFFFF
	s_mul_i32 s82, s82, s71                                    // 000000010B14: 92524752
	s_mul_i32 s61, s60, s61                                    // 000000010B18: 923D3D3C
	s_add_u32 s82, s82, s61                                    // 000000010B1C: 80523D52
	v_mul_lo_u32 v6, v5, s82                                   // 000000010B20: D2850006 0000A505
	v_readlane_b32 s82, v3, 13                                 // 000000010B28: D2890052 00011B03
	s_lshr_b32 s61, s82, 24                                    // 000000010B30: 8F3D9852
	s_and_b32 s82, s82, 0xffffff                               // 000000010B34: 8652FF52 00FFFFFF
	s_mul_i32 s82, s82, s71                                    // 000000010B3C: 92524752
	s_mul_i32 s61, s60, s61                                    // 000000010B40: 923D3D3C
	s_add_u32 s82, s82, s61                                    // 000000010B44: 80523D52
	v_mul_lo_u32 v7, v4, s82                                   // 000000010B48: D2850007 0000A504
	v_add_u32_e32 v64, v6, v7                                  // 000000010B50: 68800F06
	v_readlane_b32 s82, v3, 14                                 // 000000010B54: D2890052 00011D03
	s_lshr_b32 s61, s82, 24                                    // 000000010B5C: 8F3D9852
	s_and_b32 s82, s82, 0xffffff                               // 000000010B60: 8652FF52 00FFFFFF
	s_mul_i32 s82, s82, s71                                    // 000000010B68: 92524752
	s_mul_i32 s61, s60, s61                                    // 000000010B6C: 923D3D3C
	s_add_u32 s82, s82, s61                                    // 000000010B70: 80523D52
	v_mul_lo_u32 v6, v5, s82                                   // 000000010B74: D2850006 0000A505
	v_readlane_b32 s82, v3, 15                                 // 000000010B7C: D2890052 00011F03
	s_lshr_b32 s61, s82, 24                                    // 000000010B84: 8F3D9852
	s_and_b32 s82, s82, 0xffffff                               // 000000010B88: 8652FF52 00FFFFFF
	s_mul_i32 s82, s82, s71                                    // 000000010B90: 92524752
	s_mul_i32 s61, s60, s61                                    // 000000010B94: 923D3D3C
	s_add_u32 s82, s82, s61                                    // 000000010B98: 80523D52
	v_mul_lo_u32 v7, v4, s82                                   // 000000010B9C: D2850007 0000A504
	v_add_u32_e32 v65, v6, v7                                  // 000000010BA4: 68820F06
	v_readlane_b32 s82, v3, 16                                 // 000000010BA8: D2890052 00012103
	s_lshr_b32 s61, s82, 24                                    // 000000010BB0: 8F3D9852
	s_and_b32 s82, s82, 0xffffff                               // 000000010BB4: 8652FF52 00FFFFFF
	s_mul_i32 s82, s82, s71                                    // 000000010BBC: 92524752
	s_mul_i32 s61, s60, s61                                    // 000000010BC0: 923D3D3C
	s_add_u32 s82, s82, s61                                    // 000000010BC4: 80523D52
	v_mul_lo_u32 v6, v5, s82                                   // 000000010BC8: D2850006 0000A505
	v_readlane_b32 s82, v3, 17                                 // 000000010BD0: D2890052 00012303
	s_lshr_b32 s61, s82, 24                                    // 000000010BD8: 8F3D9852
	s_and_b32 s82, s82, 0xffffff                               // 000000010BDC: 8652FF52 00FFFFFF
	s_mul_i32 s82, s82, s71                                    // 000000010BE4: 92524752
	s_mul_i32 s61, s60, s61                                    // 000000010BE8: 923D3D3C
	s_add_u32 s82, s82, s61                                    // 000000010BEC: 80523D52
	v_mul_lo_u32 v7, v4, s82                                   // 000000010BF0: D2850007 0000A504
	v_add_u32_e32 v66, v6, v7                                  // 000000010BF8: 68840F06
	v_readlane_b32 s82, v3, 18                                 // 000000010BFC: D2890052 00012503
	s_lshr_b32 s61, s82, 24                                    // 000000010C04: 8F3D9852
	s_and_b32 s82, s82, 0xffffff                               // 000000010C08: 8652FF52 00FFFFFF
	s_mul_i32 s82, s82, s71                                    // 000000010C10: 92524752
	s_mul_i32 s61, s60, s61                                    // 000000010C14: 923D3D3C
	s_add_u32 s82, s82, s61                                    // 000000010C18: 80523D52
	v_mul_lo_u32 v6, v5, s82                                   // 000000010C1C: D2850006 0000A505
	v_readlane_b32 s82, v3, 19                                 // 000000010C24: D2890052 00012703
	s_lshr_b32 s61, s82, 24                                    // 000000010C2C: 8F3D9852
	s_and_b32 s82, s82, 0xffffff                               // 000000010C30: 8652FF52 00FFFFFF
	s_mul_i32 s82, s82, s71                                    // 000000010C38: 92524752
	s_mul_i32 s61, s60, s61                                    // 000000010C3C: 923D3D3C
	s_add_u32 s82, s82, s61                                    // 000000010C40: 80523D52
	v_mul_lo_u32 v7, v4, s82                                   // 000000010C44: D2850007 0000A504
	v_add_u32_e32 v67, v6, v7                                  // 000000010C4C: 68860F06
	v_readlane_b32 s82, v3, 20                                 // 000000010C50: D2890052 00012903
	s_lshr_b32 s61, s82, 24                                    // 000000010C58: 8F3D9852
	s_and_b32 s82, s82, 0xffffff                               // 000000010C5C: 8652FF52 00FFFFFF
	s_mul_i32 s82, s82, s71                                    // 000000010C64: 92524752
	s_mul_i32 s61, s60, s61                                    // 000000010C68: 923D3D3C
	s_add_u32 s82, s82, s61                                    // 000000010C6C: 80523D52
	v_mul_lo_u32 v6, v5, s82                                   // 000000010C70: D2850006 0000A505
	v_readlane_b32 s82, v3, 21                                 // 000000010C78: D2890052 00012B03
	s_lshr_b32 s61, s82, 24                                    // 000000010C80: 8F3D9852
	s_and_b32 s82, s82, 0xffffff                               // 000000010C84: 8652FF52 00FFFFFF
	s_mul_i32 s82, s82, s71                                    // 000000010C8C: 92524752
	s_mul_i32 s61, s60, s61                                    // 000000010C90: 923D3D3C
	s_add_u32 s82, s82, s61                                    // 000000010C94: 80523D52
	v_mul_lo_u32 v7, v4, s82                                   // 000000010C98: D2850007 0000A504
	v_add_u32_e32 v68, v6, v7                                  // 000000010CA0: 68880F06
	v_readlane_b32 s82, v3, 22                                 // 000000010CA4: D2890052 00012D03
	s_lshr_b32 s61, s82, 24                                    // 000000010CAC: 8F3D9852
	s_and_b32 s82, s82, 0xffffff                               // 000000010CB0: 8652FF52 00FFFFFF
	s_mul_i32 s82, s82, s71                                    // 000000010CB8: 92524752
	s_mul_i32 s61, s60, s61                                    // 000000010CBC: 923D3D3C
	s_add_u32 s82, s82, s61                                    // 000000010CC0: 80523D52
	v_mul_lo_u32 v6, v5, s82                                   // 000000010CC4: D2850006 0000A505
	v_readlane_b32 s82, v3, 23                                 // 000000010CCC: D2890052 00012F03
	s_lshr_b32 s61, s82, 24                                    // 000000010CD4: 8F3D9852
	s_and_b32 s82, s82, 0xffffff                               // 000000010CD8: 8652FF52 00FFFFFF
	s_mul_i32 s82, s82, s71                                    // 000000010CE0: 92524752
	s_mul_i32 s61, s60, s61                                    // 000000010CE4: 923D3D3C
	s_add_u32 s82, s82, s61                                    // 000000010CE8: 80523D52
	v_mul_lo_u32 v7, v4, s82                                   // 000000010CEC: D2850007 0000A504
	v_add_u32_e32 v69, v6, v7                                  // 000000010CF4: 688A0F06
	v_readlane_b32 s82, v3, 24                                 // 000000010CF8: D2890052 00013103
	s_lshr_b32 s61, s82, 24                                    // 000000010D00: 8F3D9852
	s_and_b32 s82, s82, 0xffffff                               // 000000010D04: 8652FF52 00FFFFFF
	s_mul_i32 s82, s82, s71                                    // 000000010D0C: 92524752
	s_mul_i32 s61, s60, s61                                    // 000000010D10: 923D3D3C
	s_add_u32 s82, s82, s61                                    // 000000010D14: 80523D52
	v_mul_lo_u32 v6, v5, s82                                   // 000000010D18: D2850006 0000A505
	v_readlane_b32 s82, v3, 25                                 // 000000010D20: D2890052 00013303
	s_lshr_b32 s61, s82, 24                                    // 000000010D28: 8F3D9852
	s_and_b32 s82, s82, 0xffffff                               // 000000010D2C: 8652FF52 00FFFFFF
	s_mul_i32 s82, s82, s71                                    // 000000010D34: 92524752
	s_mul_i32 s61, s60, s61                                    // 000000010D38: 923D3D3C
	s_add_u32 s82, s82, s61                                    // 000000010D3C: 80523D52
	v_mul_lo_u32 v7, v4, s82                                   // 000000010D40: D2850007 0000A504
	v_add_u32_e32 v70, v6, v7                                  // 000000010D48: 688C0F06
	v_readlane_b32 s82, v3, 26                                 // 000000010D4C: D2890052 00013503
	s_lshr_b32 s61, s82, 24                                    // 000000010D54: 8F3D9852
	s_and_b32 s82, s82, 0xffffff                               // 000000010D58: 8652FF52 00FFFFFF
	s_mul_i32 s82, s82, s71                                    // 000000010D60: 92524752
	s_mul_i32 s61, s60, s61                                    // 000000010D64: 923D3D3C
	s_add_u32 s82, s82, s61                                    // 000000010D68: 80523D52
	v_mul_lo_u32 v6, v5, s82                                   // 000000010D6C: D2850006 0000A505
	v_readlane_b32 s82, v3, 27                                 // 000000010D74: D2890052 00013703
	s_lshr_b32 s61, s82, 24                                    // 000000010D7C: 8F3D9852
	s_and_b32 s82, s82, 0xffffff                               // 000000010D80: 8652FF52 00FFFFFF
	s_mul_i32 s82, s82, s71                                    // 000000010D88: 92524752
	s_mul_i32 s61, s60, s61                                    // 000000010D8C: 923D3D3C
	s_add_u32 s82, s82, s61                                    // 000000010D90: 80523D52
	v_mul_lo_u32 v7, v4, s82                                   // 000000010D94: D2850007 0000A504
	v_add_u32_e32 v71, v6, v7                                  // 000000010D9C: 688E0F06
	v_and_b32_e32 v4, 31, v0                                   // 000000010DA0: 2608009F
	v_lshrrev_b32_e32 v4, 1, v4                                // 000000010DA4: 20080881
	s_cmp_eq_u32 s88, 0                                        // 000000010DA8: BF068058
	s_cselect_b32 s61, 2, 4                                    // 000000010DAC: 853D8482
	v_mul_lo_u32 v4, v4, s61                                   // 000000010DB0: D2850004 00007B04
	v_and_b32_e64 v5, v0, 1                                    // 000000010DB8: D1130005 00010300
	v_add_u32_e32 v4, v4, v5                                   // 000000010DC0: 68080B04
	v_lshlrev_b32_e32 v4, 2, v4                                // 000000010DC4: 24080882
	v_add_u32_e32 v58, v58, v4                                 // 000000010DC8: 6874093A
	v_add_u32_e32 v59, v59, v4                                 // 000000010DCC: 6876093B
	v_add_u32_e32 v60, v60, v4                                 // 000000010DD0: 6878093C
	v_add_u32_e32 v61, v61, v4                                 // 000000010DD4: 687A093D
	v_add_u32_e32 v62, v62, v4                                 // 000000010DD8: 687C093E
	v_add_u32_e32 v63, v63, v4                                 // 000000010DDC: 687E093F
	v_add_u32_e32 v64, v64, v4                                 // 000000010DE0: 68800940
	v_add_u32_e32 v65, v65, v4                                 // 000000010DE4: 68820941
	v_add_u32_e32 v66, v66, v4                                 // 000000010DE8: 68840942
	v_add_u32_e32 v67, v67, v4                                 // 000000010DEC: 68860943
	v_add_u32_e32 v68, v68, v4                                 // 000000010DF0: 68880944
	v_add_u32_e32 v69, v69, v4                                 // 000000010DF4: 688A0945
	v_add_u32_e32 v70, v70, v4                                 // 000000010DF8: 688C0946
	v_add_u32_e32 v71, v71, v4                                 // 000000010DFC: 688E0947
	s_waitcnt lgkmcnt(0)                                       // 000000010E00: BF8CC07F
	s_barrier                                                  // 000000010E04: BF8A0000
	ds_read_b32 v76, v21                                       // 000000010E08: D86C0000 4C000015
	ds_read_b32 v77, v21 offset:64                             // 000000010E10: D86C0040 4D000015
	ds_read_b32 v78, v21 offset:2176                           // 000000010E18: D86C0880 4E000015
	ds_read_b32 v79, v21 offset:2240                           // 000000010E20: D86C08C0 4F000015
	ds_read_b32 v80, v21 offset:4352                           // 000000010E28: D86C1100 50000015
	ds_read_b32 v81, v21 offset:4416                           // 000000010E30: D86C1140 51000015
	ds_read_b32 v82, v21 offset:6528                           // 000000010E38: D86C1980 52000015
	ds_read_b32 v83, v21 offset:6592                           // 000000010E40: D86C19C0 53000015
	ds_read_b32 v84, v21 offset:8704                           // 000000010E48: D86C2200 54000015
	ds_read_b32 v85, v21 offset:8768                           // 000000010E50: D86C2240 55000015
	ds_read_b32 v86, v21 offset:10880                          // 000000010E58: D86C2A80 56000015
	ds_read_b32 v87, v21 offset:10944                          // 000000010E60: D86C2AC0 57000015
	ds_read_b32 v88, v21 offset:13056                          // 000000010E68: D86C3300 58000015
	ds_read_b32 v89, v21 offset:13120                          // 000000010E70: D86C3340 59000015
	s_waitcnt lgkmcnt(0)                                       // 000000010E78: BF8CC07F
	s_mov_b32 s36, -1                                          // 000000010E7C: BEA400C1
	s_mov_b32 s37, -1                                          // 000000010E80: BEA500C1
	v_mov_b32_e32 v7, 0                                        // 000000010E84: 7E0E0280
	s_or_b32 s9, s9, 0x40000                                   // 000000010E88: 8709FF09 00040000
	s_mov_b64 exec, s[36:37]                                   // 000000010E90: BEFE0124
	v_mov_b32_e32 v6, v58                                      // 000000010E94: 7E0C033A
	s_mov_b64 s[60:61], 0                                      // 000000010E98: BEBC0180
	v_readlane_b32 s82, v3, 0                                  // 000000010E9C: D2890052 00010103
	s_and_b32 s82, s82, 0xffffff                               // 000000010EA4: 8652FF52 00FFFFFF
	s_cmp_lt_u32 s82, s66                                      // 000000010EAC: BF0A4252
	s_cselect_b32 s20, s36, s60                                // 000000010EB0: 85143C24
	v_readlane_b32 s82, v3, 1                                  // 000000010EB4: D2890052 00010303
	s_and_b32 s82, s82, 0xffffff                               // 000000010EBC: 8652FF52 00FFFFFF
	s_cmp_lt_u32 s82, s66                                      // 000000010EC4: BF0A4252
	s_cselect_b32 s21, s36, s60                                // 000000010EC8: 85153C24
	s_mov_b64 exec, s[20:21]                                   // 000000010ECC: BEFE0114
	buffer_store_dword v76, v6, s[8:11], 0 offen               // 000000010ED0: E0701000 80024C06
	s_mov_b64 exec, s[36:37]                                   // 000000010ED8: BEFE0124
	v_mov_b32_e32 v6, v59                                      // 000000010EDC: 7E0C033B
	s_mov_b64 s[60:61], 0                                      // 000000010EE0: BEBC0180
	v_readlane_b32 s82, v3, 2                                  // 000000010EE4: D2890052 00010503
	s_and_b32 s82, s82, 0xffffff                               // 000000010EEC: 8652FF52 00FFFFFF
	s_cmp_lt_u32 s82, s66                                      // 000000010EF4: BF0A4252
	s_cselect_b32 s20, s36, s60                                // 000000010EF8: 85143C24
	v_readlane_b32 s82, v3, 3                                  // 000000010EFC: D2890052 00010703
	s_and_b32 s82, s82, 0xffffff                               // 000000010F04: 8652FF52 00FFFFFF
	s_cmp_lt_u32 s82, s66                                      // 000000010F0C: BF0A4252
	s_cselect_b32 s21, s36, s60                                // 000000010F10: 85153C24
	s_mov_b64 exec, s[20:21]                                   // 000000010F14: BEFE0114
	buffer_store_dword v77, v6, s[8:11], 0 offen               // 000000010F18: E0701000 80024D06
	s_mov_b64 exec, s[36:37]                                   // 000000010F20: BEFE0124
	v_mov_b32_e32 v6, v60                                      // 000000010F24: 7E0C033C
	s_mov_b64 s[60:61], 0                                      // 000000010F28: BEBC0180
	v_readlane_b32 s82, v3, 4                                  // 000000010F2C: D2890052 00010903
	s_and_b32 s82, s82, 0xffffff                               // 000000010F34: 8652FF52 00FFFFFF
	s_cmp_lt_u32 s82, s66                                      // 000000010F3C: BF0A4252
	s_cselect_b32 s20, s36, s60                                // 000000010F40: 85143C24
	v_readlane_b32 s82, v3, 5                                  // 000000010F44: D2890052 00010B03
	s_and_b32 s82, s82, 0xffffff                               // 000000010F4C: 8652FF52 00FFFFFF
	s_cmp_lt_u32 s82, s66                                      // 000000010F54: BF0A4252
	s_cselect_b32 s21, s36, s60                                // 000000010F58: 85153C24
	s_mov_b64 exec, s[20:21]                                   // 000000010F5C: BEFE0114
	buffer_store_dword v78, v6, s[8:11], 0 offen               // 000000010F60: E0701000 80024E06
	s_mov_b64 exec, s[36:37]                                   // 000000010F68: BEFE0124
	v_mov_b32_e32 v6, v61                                      // 000000010F6C: 7E0C033D
	s_mov_b64 s[60:61], 0                                      // 000000010F70: BEBC0180
	v_readlane_b32 s82, v3, 6                                  // 000000010F74: D2890052 00010D03
	s_and_b32 s82, s82, 0xffffff                               // 000000010F7C: 8652FF52 00FFFFFF
	s_cmp_lt_u32 s82, s66                                      // 000000010F84: BF0A4252
	s_cselect_b32 s20, s36, s60                                // 000000010F88: 85143C24
	v_readlane_b32 s82, v3, 7                                  // 000000010F8C: D2890052 00010F03
	s_and_b32 s82, s82, 0xffffff                               // 000000010F94: 8652FF52 00FFFFFF
	s_cmp_lt_u32 s82, s66                                      // 000000010F9C: BF0A4252
	s_cselect_b32 s21, s36, s60                                // 000000010FA0: 85153C24
	s_mov_b64 exec, s[20:21]                                   // 000000010FA4: BEFE0114
	buffer_store_dword v79, v6, s[8:11], 0 offen               // 000000010FA8: E0701000 80024F06
	s_mov_b64 exec, s[36:37]                                   // 000000010FB0: BEFE0124
	v_mov_b32_e32 v6, v62                                      // 000000010FB4: 7E0C033E
	s_mov_b64 s[60:61], 0                                      // 000000010FB8: BEBC0180
	v_readlane_b32 s82, v3, 8                                  // 000000010FBC: D2890052 00011103
	s_and_b32 s82, s82, 0xffffff                               // 000000010FC4: 8652FF52 00FFFFFF
	s_cmp_lt_u32 s82, s66                                      // 000000010FCC: BF0A4252
	s_cselect_b32 s20, s36, s60                                // 000000010FD0: 85143C24
	v_readlane_b32 s82, v3, 9                                  // 000000010FD4: D2890052 00011303
	s_and_b32 s82, s82, 0xffffff                               // 000000010FDC: 8652FF52 00FFFFFF
	s_cmp_lt_u32 s82, s66                                      // 000000010FE4: BF0A4252
	s_cselect_b32 s21, s36, s60                                // 000000010FE8: 85153C24
	s_mov_b64 exec, s[20:21]                                   // 000000010FEC: BEFE0114
	buffer_store_dword v80, v6, s[8:11], 0 offen               // 000000010FF0: E0701000 80025006
	s_mov_b64 exec, s[36:37]                                   // 000000010FF8: BEFE0124
	v_mov_b32_e32 v6, v63                                      // 000000010FFC: 7E0C033F
	s_mov_b64 s[60:61], 0                                      // 000000011000: BEBC0180
	v_readlane_b32 s82, v3, 10                                 // 000000011004: D2890052 00011503
	s_and_b32 s82, s82, 0xffffff                               // 00000001100C: 8652FF52 00FFFFFF
	s_cmp_lt_u32 s82, s66                                      // 000000011014: BF0A4252
	s_cselect_b32 s20, s36, s60                                // 000000011018: 85143C24
	v_readlane_b32 s82, v3, 11                                 // 00000001101C: D2890052 00011703
	s_and_b32 s82, s82, 0xffffff                               // 000000011024: 8652FF52 00FFFFFF
	s_cmp_lt_u32 s82, s66                                      // 00000001102C: BF0A4252
	s_cselect_b32 s21, s36, s60                                // 000000011030: 85153C24
	s_mov_b64 exec, s[20:21]                                   // 000000011034: BEFE0114
	buffer_store_dword v81, v6, s[8:11], 0 offen               // 000000011038: E0701000 80025106
	s_mov_b64 exec, s[36:37]                                   // 000000011040: BEFE0124
	v_mov_b32_e32 v6, v64                                      // 000000011044: 7E0C0340
	s_mov_b64 s[60:61], 0                                      // 000000011048: BEBC0180
	v_readlane_b32 s82, v3, 12                                 // 00000001104C: D2890052 00011903
	s_and_b32 s82, s82, 0xffffff                               // 000000011054: 8652FF52 00FFFFFF
	s_cmp_lt_u32 s82, s66                                      // 00000001105C: BF0A4252
	s_cselect_b32 s20, s36, s60                                // 000000011060: 85143C24
	v_readlane_b32 s82, v3, 13                                 // 000000011064: D2890052 00011B03
	s_and_b32 s82, s82, 0xffffff                               // 00000001106C: 8652FF52 00FFFFFF
	s_cmp_lt_u32 s82, s66                                      // 000000011074: BF0A4252
	s_cselect_b32 s21, s36, s60                                // 000000011078: 85153C24
	s_mov_b64 exec, s[20:21]                                   // 00000001107C: BEFE0114
	buffer_store_dword v82, v6, s[8:11], 0 offen               // 000000011080: E0701000 80025206
	s_mov_b64 exec, s[36:37]                                   // 000000011088: BEFE0124
	v_mov_b32_e32 v6, v65                                      // 00000001108C: 7E0C0341
	s_mov_b64 s[60:61], 0                                      // 000000011090: BEBC0180
	v_readlane_b32 s82, v3, 14                                 // 000000011094: D2890052 00011D03
	s_and_b32 s82, s82, 0xffffff                               // 00000001109C: 8652FF52 00FFFFFF
	s_cmp_lt_u32 s82, s66                                      // 0000000110A4: BF0A4252
	s_cselect_b32 s20, s36, s60                                // 0000000110A8: 85143C24
	v_readlane_b32 s82, v3, 15                                 // 0000000110AC: D2890052 00011F03
	s_and_b32 s82, s82, 0xffffff                               // 0000000110B4: 8652FF52 00FFFFFF
	s_cmp_lt_u32 s82, s66                                      // 0000000110BC: BF0A4252
	s_cselect_b32 s21, s36, s60                                // 0000000110C0: 85153C24
	s_mov_b64 exec, s[20:21]                                   // 0000000110C4: BEFE0114
	buffer_store_dword v83, v6, s[8:11], 0 offen               // 0000000110C8: E0701000 80025306
	s_mov_b64 exec, s[36:37]                                   // 0000000110D0: BEFE0124
	v_mov_b32_e32 v6, v66                                      // 0000000110D4: 7E0C0342
	s_mov_b64 s[60:61], 0                                      // 0000000110D8: BEBC0180
	v_readlane_b32 s82, v3, 16                                 // 0000000110DC: D2890052 00012103
	s_and_b32 s82, s82, 0xffffff                               // 0000000110E4: 8652FF52 00FFFFFF
	s_cmp_lt_u32 s82, s66                                      // 0000000110EC: BF0A4252
	s_cselect_b32 s20, s36, s60                                // 0000000110F0: 85143C24
	v_readlane_b32 s82, v3, 17                                 // 0000000110F4: D2890052 00012303
	s_and_b32 s82, s82, 0xffffff                               // 0000000110FC: 8652FF52 00FFFFFF
	s_cmp_lt_u32 s82, s66                                      // 000000011104: BF0A4252
	s_cselect_b32 s21, s36, s60                                // 000000011108: 85153C24
	s_mov_b64 exec, s[20:21]                                   // 00000001110C: BEFE0114
	buffer_store_dword v84, v6, s[8:11], 0 offen               // 000000011110: E0701000 80025406
	s_mov_b64 exec, s[36:37]                                   // 000000011118: BEFE0124
	v_mov_b32_e32 v6, v67                                      // 00000001111C: 7E0C0343
	s_mov_b64 s[60:61], 0                                      // 000000011120: BEBC0180
	v_readlane_b32 s82, v3, 18                                 // 000000011124: D2890052 00012503
	s_and_b32 s82, s82, 0xffffff                               // 00000001112C: 8652FF52 00FFFFFF
	s_cmp_lt_u32 s82, s66                                      // 000000011134: BF0A4252
	s_cselect_b32 s20, s36, s60                                // 000000011138: 85143C24
	v_readlane_b32 s82, v3, 19                                 // 00000001113C: D2890052 00012703
	s_and_b32 s82, s82, 0xffffff                               // 000000011144: 8652FF52 00FFFFFF
	s_cmp_lt_u32 s82, s66                                      // 00000001114C: BF0A4252
	s_cselect_b32 s21, s36, s60                                // 000000011150: 85153C24
	s_mov_b64 exec, s[20:21]                                   // 000000011154: BEFE0114
	buffer_store_dword v85, v6, s[8:11], 0 offen               // 000000011158: E0701000 80025506
	s_mov_b64 exec, s[36:37]                                   // 000000011160: BEFE0124
	v_mov_b32_e32 v6, v68                                      // 000000011164: 7E0C0344
	s_mov_b64 s[60:61], 0                                      // 000000011168: BEBC0180
	v_readlane_b32 s82, v3, 20                                 // 00000001116C: D2890052 00012903
	s_and_b32 s82, s82, 0xffffff                               // 000000011174: 8652FF52 00FFFFFF
	s_cmp_lt_u32 s82, s66                                      // 00000001117C: BF0A4252
	s_cselect_b32 s20, s36, s60                                // 000000011180: 85143C24
	v_readlane_b32 s82, v3, 21                                 // 000000011184: D2890052 00012B03
	s_and_b32 s82, s82, 0xffffff                               // 00000001118C: 8652FF52 00FFFFFF
	s_cmp_lt_u32 s82, s66                                      // 000000011194: BF0A4252
	s_cselect_b32 s21, s36, s60                                // 000000011198: 85153C24
	s_mov_b64 exec, s[20:21]                                   // 00000001119C: BEFE0114
	buffer_store_dword v86, v6, s[8:11], 0 offen               // 0000000111A0: E0701000 80025606
	s_mov_b64 exec, s[36:37]                                   // 0000000111A8: BEFE0124
	v_mov_b32_e32 v6, v69                                      // 0000000111AC: 7E0C0345
	s_mov_b64 s[60:61], 0                                      // 0000000111B0: BEBC0180
	v_readlane_b32 s82, v3, 22                                 // 0000000111B4: D2890052 00012D03
	s_and_b32 s82, s82, 0xffffff                               // 0000000111BC: 8652FF52 00FFFFFF
	s_cmp_lt_u32 s82, s66                                      // 0000000111C4: BF0A4252
	s_cselect_b32 s20, s36, s60                                // 0000000111C8: 85143C24
	v_readlane_b32 s82, v3, 23                                 // 0000000111CC: D2890052 00012F03
	s_and_b32 s82, s82, 0xffffff                               // 0000000111D4: 8652FF52 00FFFFFF
	s_cmp_lt_u32 s82, s66                                      // 0000000111DC: BF0A4252
	s_cselect_b32 s21, s36, s60                                // 0000000111E0: 85153C24
	s_mov_b64 exec, s[20:21]                                   // 0000000111E4: BEFE0114
	buffer_store_dword v87, v6, s[8:11], 0 offen               // 0000000111E8: E0701000 80025706
	s_mov_b64 exec, s[36:37]                                   // 0000000111F0: BEFE0124
	v_mov_b32_e32 v6, v70                                      // 0000000111F4: 7E0C0346
	s_mov_b64 s[60:61], 0                                      // 0000000111F8: BEBC0180
	v_readlane_b32 s82, v3, 24                                 // 0000000111FC: D2890052 00013103
	s_and_b32 s82, s82, 0xffffff                               // 000000011204: 8652FF52 00FFFFFF
	s_cmp_lt_u32 s82, s66                                      // 00000001120C: BF0A4252
	s_cselect_b32 s20, s36, s60                                // 000000011210: 85143C24
	v_readlane_b32 s82, v3, 25                                 // 000000011214: D2890052 00013303
	s_and_b32 s82, s82, 0xffffff                               // 00000001121C: 8652FF52 00FFFFFF
	s_cmp_lt_u32 s82, s66                                      // 000000011224: BF0A4252
	s_cselect_b32 s21, s36, s60                                // 000000011228: 85153C24
	s_mov_b64 exec, s[20:21]                                   // 00000001122C: BEFE0114
	buffer_store_dword v88, v6, s[8:11], 0 offen               // 000000011230: E0701000 80025806
	s_mov_b64 exec, s[36:37]                                   // 000000011238: BEFE0124
	v_mov_b32_e32 v6, v71                                      // 00000001123C: 7E0C0347
	s_mov_b64 s[60:61], 0                                      // 000000011240: BEBC0180
	v_readlane_b32 s82, v3, 26                                 // 000000011244: D2890052 00013503
	s_and_b32 s82, s82, 0xffffff                               // 00000001124C: 8652FF52 00FFFFFF
	s_cmp_lt_u32 s82, s66                                      // 000000011254: BF0A4252
	s_cselect_b32 s20, s36, s60                                // 000000011258: 85143C24
	v_readlane_b32 s82, v3, 27                                 // 00000001125C: D2890052 00013703
	s_and_b32 s82, s82, 0xffffff                               // 000000011264: 8652FF52 00FFFFFF
	s_cmp_lt_u32 s82, s66                                      // 00000001126C: BF0A4252
	s_cselect_b32 s21, s36, s60                                // 000000011270: 85153C24
	s_mov_b64 exec, s[20:21]                                   // 000000011274: BEFE0114
	buffer_store_dword v89, v6, s[8:11], 0 offen               // 000000011278: E0701000 80025906
	s_mov_b64 exec, s[36:37]                                   // 000000011280: BEFE0124
	s_cmp_eq_u32 s7, 0                                         // 000000011284: BF068007
	s_cbranch_scc0 label_4190                                  // 000000011288: BF84076A
	s_waitcnt vmcnt(14)                                        // 00000001128C: BF8C0F7E
	s_mov_b32 s8, s90                                          // 000000011290: BE88005A
	s_mov_b32 s9, s91                                          // 000000011294: BE89005B
	s_mul_i32 s60, s66, s71                                    // 000000011298: 923C4742
	s_add_u32 s8, s60, s8                                      // 00000001129C: 8008083C
	s_addc_u32 s9, 0, s9                                       // 0000000112A0: 82090980
	s_lshr_b32 s71, s71, 5                                     // 0000000112A4: 8F478547
	s_mul_i32 s60, s66, s71                                    // 0000000112A8: 923C4742
	s_mov_b32 s10, s60                                         // 0000000112AC: BE8A003C
	s_lshr_b32 s61, s65, 5                                     // 0000000112B0: 8F3D8541
	s_mul_i32 s60, s2, 4                                       // 0000000112B4: 923C8402
	v_lshrrev_b32_e32 v4, 24, v30                              // 0000000112B8: 20083C98
	v_mul_lo_u32 v4, s61, v4                                   // 0000000112BC: D2850004 0002083D
	v_and_b32_e32 v30, 0xffffff, v30                           // 0000000112C4: 263C3CFF 00FFFFFF
	v_mul_lo_u32 v30, s71, v30                                 // 0000000112CC: D285001E 00023C47
	v_add_u32_e32 v30, v4, v30                                 // 0000000112D4: 683C3D04
	v_add_u32_e32 v30, s60, v30                                // 0000000112D8: 683C3C3C
	v_lshrrev_b32_e32 v4, 24, v31                              // 0000000112DC: 20083E98
	v_mul_lo_u32 v4, s61, v4                                   // 0000000112E0: D2850004 0002083D
	v_and_b32_e32 v31, 0xffffff, v31                           // 0000000112E8: 263E3EFF 00FFFFFF
	v_mul_lo_u32 v31, s71, v31                                 // 0000000112F0: D285001F 00023E47
	v_add_u32_e32 v31, v4, v31                                 // 0000000112F8: 683E3F04
	v_add_u32_e32 v31, s60, v31                                // 0000000112FC: 683E3E3C
	v_lshrrev_b32_e32 v4, 24, v32                              // 000000011300: 20084098
	v_mul_lo_u32 v4, s61, v4                                   // 000000011304: D2850004 0002083D
	v_and_b32_e32 v32, 0xffffff, v32                           // 00000001130C: 264040FF 00FFFFFF
	v_mul_lo_u32 v32, s71, v32                                 // 000000011314: D2850020 00024047
	v_add_u32_e32 v32, v4, v32                                 // 00000001131C: 68404104
	v_add_u32_e32 v32, s60, v32                                // 000000011320: 6840403C
	v_lshrrev_b32_e32 v4, 24, v33                              // 000000011324: 20084298
	v_mul_lo_u32 v4, s61, v4                                   // 000000011328: D2850004 0002083D
	v_and_b32_e32 v33, 0xffffff, v33                           // 000000011330: 264242FF 00FFFFFF
	v_mul_lo_u32 v33, s71, v33                                 // 000000011338: D2850021 00024247
	v_add_u32_e32 v33, v4, v33                                 // 000000011340: 68424304
	v_add_u32_e32 v33, s60, v33                                // 000000011344: 6842423C
	v_lshrrev_b32_e32 v4, 24, v34                              // 000000011348: 20084498
	v_mul_lo_u32 v4, s61, v4                                   // 00000001134C: D2850004 0002083D
	v_and_b32_e32 v34, 0xffffff, v34                           // 000000011354: 264444FF 00FFFFFF
	v_mul_lo_u32 v34, s71, v34                                 // 00000001135C: D2850022 00024447
	v_add_u32_e32 v34, v4, v34                                 // 000000011364: 68444504
	v_add_u32_e32 v34, s60, v34                                // 000000011368: 6844443C
	v_lshrrev_b32_e32 v4, 24, v35                              // 00000001136C: 20084698
	v_mul_lo_u32 v4, s61, v4                                   // 000000011370: D2850004 0002083D
	v_and_b32_e32 v35, 0xffffff, v35                           // 000000011378: 264646FF 00FFFFFF
	v_mul_lo_u32 v35, s71, v35                                 // 000000011380: D2850023 00024647
	v_add_u32_e32 v35, v4, v35                                 // 000000011388: 68464704
	v_add_u32_e32 v35, s60, v35                                // 00000001138C: 6846463C
	v_lshrrev_b32_e32 v4, 24, v36                              // 000000011390: 20084898
	v_mul_lo_u32 v4, s61, v4                                   // 000000011394: D2850004 0002083D
	v_and_b32_e32 v36, 0xffffff, v36                           // 00000001139C: 264848FF 00FFFFFF
	v_mul_lo_u32 v36, s71, v36                                 // 0000000113A4: D2850024 00024847
	v_add_u32_e32 v36, v4, v36                                 // 0000000113AC: 68484904
	v_add_u32_e32 v36, s60, v36                                // 0000000113B0: 6848483C
	s_mov_b64 exec, 0xffff                                     // 0000000113B4: BEFE01FF 0000FFFF
	buffer_store_dword v132, v30, s[8:11], 0 offen             // 0000000113BC: E0701000 8002841E
	buffer_store_dword v133, v31, s[8:11], 0 offen             // 0000000113C4: E0701000 8002851F
	buffer_store_dword v134, v32, s[8:11], 0 offen             // 0000000113CC: E0701000 80028620
	buffer_store_dword v135, v33, s[8:11], 0 offen             // 0000000113D4: E0701000 80028721
	buffer_store_dword v136, v34, s[8:11], 0 offen             // 0000000113DC: E0701000 80028822
	buffer_store_dword v137, v35, s[8:11], 0 offen             // 0000000113E4: E0701000 80028923
	buffer_store_dword v138, v36, s[8:11], 0 offen             // 0000000113EC: E0701000 80028A24
	s_mov_b64 exec, s[36:37]                                   // 0000000113F4: BEFE0124
	s_branch label_4190                                        // 0000000113F8: BF82070E

00000000000113fc <label_3A82>:
	ds_write_b64 v20, v[76:77]                                 // 0000000113FC: D89A0000 00004C14
	ds_write_b64 v20, v[80:81] offset:4352                     // 000000011404: D89A1100 00005014
	ds_write_b64 v20, v[84:85] offset:8704                     // 00000001140C: D89A2200 00005414
	ds_write_b64 v20, v[88:89] offset:13056                    // 000000011414: D89A3300 00005814
	ds_write_b64 v20, v[92:93] offset:17408                    // 00000001141C: D89A4400 00005C14
	ds_write_b64 v20, v[96:97] offset:21760                    // 000000011424: D89A5500 00006014
	ds_write_b64 v20, v[100:101] offset:26112                  // 00000001142C: D89A6600 00006414
	ds_write_b64 v20, v[104:105] offset:2176                   // 000000011434: D89A0880 00006814
	ds_write_b64 v20, v[108:109] offset:6528                   // 00000001143C: D89A1980 00006C14
	ds_write_b64 v20, v[112:113] offset:10880                  // 000000011444: D89A2A80 00007014
	ds_write_b64 v20, v[116:117] offset:15232                  // 00000001144C: D89A3B80 00007414
	ds_write_b64 v20, v[120:121] offset:19584                  // 000000011454: D89A4C80 00007814
	ds_write_b64 v20, v[124:125] offset:23936                  // 00000001145C: D89A5D80 00007C14
	ds_write_b64 v20, v[128:129] offset:28288                  // 000000011464: D89A6E80 00008014
	v_lshrrev_b32_e32 v4, 5, v0                                // 00000001146C: 20080085
	v_xor_b32_e32 v5, 1, v4                                    // 000000011470: 2A0A0881
	s_mul_i32 s60, s65, 1                                      // 000000011474: 923C8141
	s_cmp_eq_u32 s88, 0                                        // 000000011478: BF068058
	s_cselect_b32 s61, 1, 8                                    // 00000001147C: 853D8881
	s_mul_i32 s60, s61, s60                                    // 000000011480: 923C3C3D
	v_readlane_b32 s82, v3, 0                                  // 000000011484: D2890052 00010103
	s_lshr_b32 s61, s82, 24                                    // 00000001148C: 8F3D9852
	s_and_b32 s82, s82, 0xffffff                               // 000000011490: 8652FF52 00FFFFFF
	s_mul_i32 s82, s82, s71                                    // 000000011498: 92524752
	s_mul_i32 s61, s60, s61                                    // 00000001149C: 923D3D3C
	s_add_u32 s82, s82, s61                                    // 0000000114A0: 80523D52
	v_mul_lo_u32 v6, v5, s82                                   // 0000000114A4: D2850006 0000A505
	v_readlane_b32 s82, v3, 1                                  // 0000000114AC: D2890052 00010303
	s_lshr_b32 s61, s82, 24                                    // 0000000114B4: 8F3D9852
	s_and_b32 s82, s82, 0xffffff                               // 0000000114B8: 8652FF52 00FFFFFF
	s_mul_i32 s82, s82, s71                                    // 0000000114C0: 92524752
	s_mul_i32 s61, s60, s61                                    // 0000000114C4: 923D3D3C
	s_add_u32 s82, s82, s61                                    // 0000000114C8: 80523D52
	v_mul_lo_u32 v7, v4, s82                                   // 0000000114CC: D2850007 0000A504
	v_add_u32_e32 v58, v6, v7                                  // 0000000114D4: 68740F06
	v_readlane_b32 s82, v3, 2                                  // 0000000114D8: D2890052 00010503
	s_lshr_b32 s61, s82, 24                                    // 0000000114E0: 8F3D9852
	s_and_b32 s82, s82, 0xffffff                               // 0000000114E4: 8652FF52 00FFFFFF
	s_mul_i32 s82, s82, s71                                    // 0000000114EC: 92524752
	s_mul_i32 s61, s60, s61                                    // 0000000114F0: 923D3D3C
	s_add_u32 s82, s82, s61                                    // 0000000114F4: 80523D52
	v_mul_lo_u32 v6, v5, s82                                   // 0000000114F8: D2850006 0000A505
	v_readlane_b32 s82, v3, 3                                  // 000000011500: D2890052 00010703
	s_lshr_b32 s61, s82, 24                                    // 000000011508: 8F3D9852
	s_and_b32 s82, s82, 0xffffff                               // 00000001150C: 8652FF52 00FFFFFF
	s_mul_i32 s82, s82, s71                                    // 000000011514: 92524752
	s_mul_i32 s61, s60, s61                                    // 000000011518: 923D3D3C
	s_add_u32 s82, s82, s61                                    // 00000001151C: 80523D52
	v_mul_lo_u32 v7, v4, s82                                   // 000000011520: D2850007 0000A504
	v_add_u32_e32 v59, v6, v7                                  // 000000011528: 68760F06
	v_readlane_b32 s82, v3, 4                                  // 00000001152C: D2890052 00010903
	s_lshr_b32 s61, s82, 24                                    // 000000011534: 8F3D9852
	s_and_b32 s82, s82, 0xffffff                               // 000000011538: 8652FF52 00FFFFFF
	s_mul_i32 s82, s82, s71                                    // 000000011540: 92524752
	s_mul_i32 s61, s60, s61                                    // 000000011544: 923D3D3C
	s_add_u32 s82, s82, s61                                    // 000000011548: 80523D52
	v_mul_lo_u32 v6, v5, s82                                   // 00000001154C: D2850006 0000A505
	v_readlane_b32 s82, v3, 5                                  // 000000011554: D2890052 00010B03
	s_lshr_b32 s61, s82, 24                                    // 00000001155C: 8F3D9852
	s_and_b32 s82, s82, 0xffffff                               // 000000011560: 8652FF52 00FFFFFF
	s_mul_i32 s82, s82, s71                                    // 000000011568: 92524752
	s_mul_i32 s61, s60, s61                                    // 00000001156C: 923D3D3C
	s_add_u32 s82, s82, s61                                    // 000000011570: 80523D52
	v_mul_lo_u32 v7, v4, s82                                   // 000000011574: D2850007 0000A504
	v_add_u32_e32 v60, v6, v7                                  // 00000001157C: 68780F06
	v_readlane_b32 s82, v3, 6                                  // 000000011580: D2890052 00010D03
	s_lshr_b32 s61, s82, 24                                    // 000000011588: 8F3D9852
	s_and_b32 s82, s82, 0xffffff                               // 00000001158C: 8652FF52 00FFFFFF
	s_mul_i32 s82, s82, s71                                    // 000000011594: 92524752
	s_mul_i32 s61, s60, s61                                    // 000000011598: 923D3D3C
	s_add_u32 s82, s82, s61                                    // 00000001159C: 80523D52
	v_mul_lo_u32 v6, v5, s82                                   // 0000000115A0: D2850006 0000A505
	v_readlane_b32 s82, v3, 7                                  // 0000000115A8: D2890052 00010F03
	s_lshr_b32 s61, s82, 24                                    // 0000000115B0: 8F3D9852
	s_and_b32 s82, s82, 0xffffff                               // 0000000115B4: 8652FF52 00FFFFFF
	s_mul_i32 s82, s82, s71                                    // 0000000115BC: 92524752
	s_mul_i32 s61, s60, s61                                    // 0000000115C0: 923D3D3C
	s_add_u32 s82, s82, s61                                    // 0000000115C4: 80523D52
	v_mul_lo_u32 v7, v4, s82                                   // 0000000115C8: D2850007 0000A504
	v_add_u32_e32 v61, v6, v7                                  // 0000000115D0: 687A0F06
	v_readlane_b32 s82, v3, 8                                  // 0000000115D4: D2890052 00011103
	s_lshr_b32 s61, s82, 24                                    // 0000000115DC: 8F3D9852
	s_and_b32 s82, s82, 0xffffff                               // 0000000115E0: 8652FF52 00FFFFFF
	s_mul_i32 s82, s82, s71                                    // 0000000115E8: 92524752
	s_mul_i32 s61, s60, s61                                    // 0000000115EC: 923D3D3C
	s_add_u32 s82, s82, s61                                    // 0000000115F0: 80523D52
	v_mul_lo_u32 v6, v5, s82                                   // 0000000115F4: D2850006 0000A505
	v_readlane_b32 s82, v3, 9                                  // 0000000115FC: D2890052 00011303
	s_lshr_b32 s61, s82, 24                                    // 000000011604: 8F3D9852
	s_and_b32 s82, s82, 0xffffff                               // 000000011608: 8652FF52 00FFFFFF
	s_mul_i32 s82, s82, s71                                    // 000000011610: 92524752
	s_mul_i32 s61, s60, s61                                    // 000000011614: 923D3D3C
	s_add_u32 s82, s82, s61                                    // 000000011618: 80523D52
	v_mul_lo_u32 v7, v4, s82                                   // 00000001161C: D2850007 0000A504
	v_add_u32_e32 v62, v6, v7                                  // 000000011624: 687C0F06
	v_readlane_b32 s82, v3, 10                                 // 000000011628: D2890052 00011503
	s_lshr_b32 s61, s82, 24                                    // 000000011630: 8F3D9852
	s_and_b32 s82, s82, 0xffffff                               // 000000011634: 8652FF52 00FFFFFF
	s_mul_i32 s82, s82, s71                                    // 00000001163C: 92524752
	s_mul_i32 s61, s60, s61                                    // 000000011640: 923D3D3C
	s_add_u32 s82, s82, s61                                    // 000000011644: 80523D52
	v_mul_lo_u32 v6, v5, s82                                   // 000000011648: D2850006 0000A505
	v_readlane_b32 s82, v3, 11                                 // 000000011650: D2890052 00011703
	s_lshr_b32 s61, s82, 24                                    // 000000011658: 8F3D9852
	s_and_b32 s82, s82, 0xffffff                               // 00000001165C: 8652FF52 00FFFFFF
	s_mul_i32 s82, s82, s71                                    // 000000011664: 92524752
	s_mul_i32 s61, s60, s61                                    // 000000011668: 923D3D3C
	s_add_u32 s82, s82, s61                                    // 00000001166C: 80523D52
	v_mul_lo_u32 v7, v4, s82                                   // 000000011670: D2850007 0000A504
	v_add_u32_e32 v63, v6, v7                                  // 000000011678: 687E0F06
	v_readlane_b32 s82, v3, 12                                 // 00000001167C: D2890052 00011903
	s_lshr_b32 s61, s82, 24                                    // 000000011684: 8F3D9852
	s_and_b32 s82, s82, 0xffffff                               // 000000011688: 8652FF52 00FFFFFF
	s_mul_i32 s82, s82, s71                                    // 000000011690: 92524752
	s_mul_i32 s61, s60, s61                                    // 000000011694: 923D3D3C
	s_add_u32 s82, s82, s61                                    // 000000011698: 80523D52
	v_mul_lo_u32 v6, v5, s82                                   // 00000001169C: D2850006 0000A505
	v_readlane_b32 s82, v3, 13                                 // 0000000116A4: D2890052 00011B03
	s_lshr_b32 s61, s82, 24                                    // 0000000116AC: 8F3D9852
	s_and_b32 s82, s82, 0xffffff                               // 0000000116B0: 8652FF52 00FFFFFF
	s_mul_i32 s82, s82, s71                                    // 0000000116B8: 92524752
	s_mul_i32 s61, s60, s61                                    // 0000000116BC: 923D3D3C
	s_add_u32 s82, s82, s61                                    // 0000000116C0: 80523D52
	v_mul_lo_u32 v7, v4, s82                                   // 0000000116C4: D2850007 0000A504
	v_add_u32_e32 v64, v6, v7                                  // 0000000116CC: 68800F06
	v_readlane_b32 s82, v3, 14                                 // 0000000116D0: D2890052 00011D03
	s_lshr_b32 s61, s82, 24                                    // 0000000116D8: 8F3D9852
	s_and_b32 s82, s82, 0xffffff                               // 0000000116DC: 8652FF52 00FFFFFF
	s_mul_i32 s82, s82, s71                                    // 0000000116E4: 92524752
	s_mul_i32 s61, s60, s61                                    // 0000000116E8: 923D3D3C
	s_add_u32 s82, s82, s61                                    // 0000000116EC: 80523D52
	v_mul_lo_u32 v6, v5, s82                                   // 0000000116F0: D2850006 0000A505
	v_readlane_b32 s82, v3, 15                                 // 0000000116F8: D2890052 00011F03
	s_lshr_b32 s61, s82, 24                                    // 000000011700: 8F3D9852
	s_and_b32 s82, s82, 0xffffff                               // 000000011704: 8652FF52 00FFFFFF
	s_mul_i32 s82, s82, s71                                    // 00000001170C: 92524752
	s_mul_i32 s61, s60, s61                                    // 000000011710: 923D3D3C
	s_add_u32 s82, s82, s61                                    // 000000011714: 80523D52
	v_mul_lo_u32 v7, v4, s82                                   // 000000011718: D2850007 0000A504
	v_add_u32_e32 v65, v6, v7                                  // 000000011720: 68820F06
	v_readlane_b32 s82, v3, 16                                 // 000000011724: D2890052 00012103
	s_lshr_b32 s61, s82, 24                                    // 00000001172C: 8F3D9852
	s_and_b32 s82, s82, 0xffffff                               // 000000011730: 8652FF52 00FFFFFF
	s_mul_i32 s82, s82, s71                                    // 000000011738: 92524752
	s_mul_i32 s61, s60, s61                                    // 00000001173C: 923D3D3C
	s_add_u32 s82, s82, s61                                    // 000000011740: 80523D52
	v_mul_lo_u32 v6, v5, s82                                   // 000000011744: D2850006 0000A505
	v_readlane_b32 s82, v3, 17                                 // 00000001174C: D2890052 00012303
	s_lshr_b32 s61, s82, 24                                    // 000000011754: 8F3D9852
	s_and_b32 s82, s82, 0xffffff                               // 000000011758: 8652FF52 00FFFFFF
	s_mul_i32 s82, s82, s71                                    // 000000011760: 92524752
	s_mul_i32 s61, s60, s61                                    // 000000011764: 923D3D3C
	s_add_u32 s82, s82, s61                                    // 000000011768: 80523D52
	v_mul_lo_u32 v7, v4, s82                                   // 00000001176C: D2850007 0000A504
	v_add_u32_e32 v66, v6, v7                                  // 000000011774: 68840F06
	v_readlane_b32 s82, v3, 18                                 // 000000011778: D2890052 00012503
	s_lshr_b32 s61, s82, 24                                    // 000000011780: 8F3D9852
	s_and_b32 s82, s82, 0xffffff                               // 000000011784: 8652FF52 00FFFFFF
	s_mul_i32 s82, s82, s71                                    // 00000001178C: 92524752
	s_mul_i32 s61, s60, s61                                    // 000000011790: 923D3D3C
	s_add_u32 s82, s82, s61                                    // 000000011794: 80523D52
	v_mul_lo_u32 v6, v5, s82                                   // 000000011798: D2850006 0000A505
	v_readlane_b32 s82, v3, 19                                 // 0000000117A0: D2890052 00012703
	s_lshr_b32 s61, s82, 24                                    // 0000000117A8: 8F3D9852
	s_and_b32 s82, s82, 0xffffff                               // 0000000117AC: 8652FF52 00FFFFFF
	s_mul_i32 s82, s82, s71                                    // 0000000117B4: 92524752
	s_mul_i32 s61, s60, s61                                    // 0000000117B8: 923D3D3C
	s_add_u32 s82, s82, s61                                    // 0000000117BC: 80523D52
	v_mul_lo_u32 v7, v4, s82                                   // 0000000117C0: D2850007 0000A504
	v_add_u32_e32 v67, v6, v7                                  // 0000000117C8: 68860F06
	v_readlane_b32 s82, v3, 20                                 // 0000000117CC: D2890052 00012903
	s_lshr_b32 s61, s82, 24                                    // 0000000117D4: 8F3D9852
	s_and_b32 s82, s82, 0xffffff                               // 0000000117D8: 8652FF52 00FFFFFF
	s_mul_i32 s82, s82, s71                                    // 0000000117E0: 92524752
	s_mul_i32 s61, s60, s61                                    // 0000000117E4: 923D3D3C
	s_add_u32 s82, s82, s61                                    // 0000000117E8: 80523D52
	v_mul_lo_u32 v6, v5, s82                                   // 0000000117EC: D2850006 0000A505
	v_readlane_b32 s82, v3, 21                                 // 0000000117F4: D2890052 00012B03
	s_lshr_b32 s61, s82, 24                                    // 0000000117FC: 8F3D9852
	s_and_b32 s82, s82, 0xffffff                               // 000000011800: 8652FF52 00FFFFFF
	s_mul_i32 s82, s82, s71                                    // 000000011808: 92524752
	s_mul_i32 s61, s60, s61                                    // 00000001180C: 923D3D3C
	s_add_u32 s82, s82, s61                                    // 000000011810: 80523D52
	v_mul_lo_u32 v7, v4, s82                                   // 000000011814: D2850007 0000A504
	v_add_u32_e32 v68, v6, v7                                  // 00000001181C: 68880F06
	v_readlane_b32 s82, v3, 22                                 // 000000011820: D2890052 00012D03
	s_lshr_b32 s61, s82, 24                                    // 000000011828: 8F3D9852
	s_and_b32 s82, s82, 0xffffff                               // 00000001182C: 8652FF52 00FFFFFF
	s_mul_i32 s82, s82, s71                                    // 000000011834: 92524752
	s_mul_i32 s61, s60, s61                                    // 000000011838: 923D3D3C
	s_add_u32 s82, s82, s61                                    // 00000001183C: 80523D52
	v_mul_lo_u32 v6, v5, s82                                   // 000000011840: D2850006 0000A505
	v_readlane_b32 s82, v3, 23                                 // 000000011848: D2890052 00012F03
	s_lshr_b32 s61, s82, 24                                    // 000000011850: 8F3D9852
	s_and_b32 s82, s82, 0xffffff                               // 000000011854: 8652FF52 00FFFFFF
	s_mul_i32 s82, s82, s71                                    // 00000001185C: 92524752
	s_mul_i32 s61, s60, s61                                    // 000000011860: 923D3D3C
	s_add_u32 s82, s82, s61                                    // 000000011864: 80523D52
	v_mul_lo_u32 v7, v4, s82                                   // 000000011868: D2850007 0000A504
	v_add_u32_e32 v69, v6, v7                                  // 000000011870: 688A0F06
	v_readlane_b32 s82, v3, 24                                 // 000000011874: D2890052 00013103
	s_lshr_b32 s61, s82, 24                                    // 00000001187C: 8F3D9852
	s_and_b32 s82, s82, 0xffffff                               // 000000011880: 8652FF52 00FFFFFF
	s_mul_i32 s82, s82, s71                                    // 000000011888: 92524752
	s_mul_i32 s61, s60, s61                                    // 00000001188C: 923D3D3C
	s_add_u32 s82, s82, s61                                    // 000000011890: 80523D52
	v_mul_lo_u32 v6, v5, s82                                   // 000000011894: D2850006 0000A505
	v_readlane_b32 s82, v3, 25                                 // 00000001189C: D2890052 00013303
	s_lshr_b32 s61, s82, 24                                    // 0000000118A4: 8F3D9852
	s_and_b32 s82, s82, 0xffffff                               // 0000000118A8: 8652FF52 00FFFFFF
	s_mul_i32 s82, s82, s71                                    // 0000000118B0: 92524752
	s_mul_i32 s61, s60, s61                                    // 0000000118B4: 923D3D3C
	s_add_u32 s82, s82, s61                                    // 0000000118B8: 80523D52
	v_mul_lo_u32 v7, v4, s82                                   // 0000000118BC: D2850007 0000A504
	v_add_u32_e32 v70, v6, v7                                  // 0000000118C4: 688C0F06
	v_readlane_b32 s82, v3, 26                                 // 0000000118C8: D2890052 00013503
	s_lshr_b32 s61, s82, 24                                    // 0000000118D0: 8F3D9852
	s_and_b32 s82, s82, 0xffffff                               // 0000000118D4: 8652FF52 00FFFFFF
	s_mul_i32 s82, s82, s71                                    // 0000000118DC: 92524752
	s_mul_i32 s61, s60, s61                                    // 0000000118E0: 923D3D3C
	s_add_u32 s82, s82, s61                                    // 0000000118E4: 80523D52
	v_mul_lo_u32 v6, v5, s82                                   // 0000000118E8: D2850006 0000A505
	v_readlane_b32 s82, v3, 27                                 // 0000000118F0: D2890052 00013703
	s_lshr_b32 s61, s82, 24                                    // 0000000118F8: 8F3D9852
	s_and_b32 s82, s82, 0xffffff                               // 0000000118FC: 8652FF52 00FFFFFF
	s_mul_i32 s82, s82, s71                                    // 000000011904: 92524752
	s_mul_i32 s61, s60, s61                                    // 000000011908: 923D3D3C
	s_add_u32 s82, s82, s61                                    // 00000001190C: 80523D52
	v_mul_lo_u32 v7, v4, s82                                   // 000000011910: D2850007 0000A504
	v_add_u32_e32 v71, v6, v7                                  // 000000011918: 688E0F06
	v_and_b32_e32 v4, 31, v0                                   // 00000001191C: 2608009F
	v_lshrrev_b32_e32 v4, 1, v4                                // 000000011920: 20080881
	s_cmp_eq_u32 s88, 0                                        // 000000011924: BF068058
	s_cselect_b32 s61, 2, 4                                    // 000000011928: 853D8482
	v_mul_lo_u32 v4, v4, s61                                   // 00000001192C: D2850004 00007B04
	v_and_b32_e64 v5, v0, 1                                    // 000000011934: D1130005 00010300
	v_add_u32_e32 v4, v4, v5                                   // 00000001193C: 68080B04
	v_lshlrev_b32_e32 v4, 2, v4                                // 000000011940: 24080882
	v_add_u32_e32 v58, v58, v4                                 // 000000011944: 6874093A
	v_add_u32_e32 v59, v59, v4                                 // 000000011948: 6876093B
	v_add_u32_e32 v60, v60, v4                                 // 00000001194C: 6878093C
	v_add_u32_e32 v61, v61, v4                                 // 000000011950: 687A093D
	v_add_u32_e32 v62, v62, v4                                 // 000000011954: 687C093E
	v_add_u32_e32 v63, v63, v4                                 // 000000011958: 687E093F
	v_add_u32_e32 v64, v64, v4                                 // 00000001195C: 68800940
	v_add_u32_e32 v65, v65, v4                                 // 000000011960: 68820941
	v_add_u32_e32 v66, v66, v4                                 // 000000011964: 68840942
	;; [unrolled: 1-line block ×3, first 2 shown]
	v_add_u32_e32 v68, v68, v4                                 // 00000001196C: 68880944
	v_add_u32_e32 v69, v69, v4                                 // 000000011970: 688A0945
	v_add_u32_e32 v70, v70, v4                                 // 000000011974: 688C0946
	v_add_u32_e32 v71, v71, v4                                 // 000000011978: 688E0947
	s_waitcnt lgkmcnt(0)                                       // 00000001197C: BF8CC07F
	s_barrier                                                  // 000000011980: BF8A0000
	ds_read_b32 v76, v21                                       // 000000011984: D86C0000 4C000015
	ds_read_b32 v77, v21 offset:64                             // 00000001198C: D86C0040 4D000015
	ds_read_b32 v80, v21 offset:2176                           // 000000011994: D86C0880 50000015
	ds_read_b32 v81, v21 offset:2240                           // 00000001199C: D86C08C0 51000015
	ds_read_b32 v84, v21 offset:4352                           // 0000000119A4: D86C1100 54000015
	ds_read_b32 v85, v21 offset:4416                           // 0000000119AC: D86C1140 55000015
	ds_read_b32 v88, v21 offset:6528                           // 0000000119B4: D86C1980 58000015
	ds_read_b32 v89, v21 offset:6592                           // 0000000119BC: D86C19C0 59000015
	ds_read_b32 v92, v21 offset:8704                           // 0000000119C4: D86C2200 5C000015
	ds_read_b32 v93, v21 offset:8768                           // 0000000119CC: D86C2240 5D000015
	ds_read_b32 v96, v21 offset:10880                          // 0000000119D4: D86C2A80 60000015
	ds_read_b32 v97, v21 offset:10944                          // 0000000119DC: D86C2AC0 61000015
	ds_read_b32 v100, v21 offset:13056                         // 0000000119E4: D86C3300 64000015
	ds_read_b32 v101, v21 offset:13120                         // 0000000119EC: D86C3340 65000015
	ds_read_b32 v104, v21 offset:15232                         // 0000000119F4: D86C3B80 68000015
	ds_read_b32 v105, v21 offset:15296                         // 0000000119FC: D86C3BC0 69000015
	ds_read_b32 v108, v21 offset:17408                         // 000000011A04: D86C4400 6C000015
	ds_read_b32 v109, v21 offset:17472                         // 000000011A0C: D86C4440 6D000015
	ds_read_b32 v112, v21 offset:19584                         // 000000011A14: D86C4C80 70000015
	ds_read_b32 v113, v21 offset:19648                         // 000000011A1C: D86C4CC0 71000015
	ds_read_b32 v116, v21 offset:21760                         // 000000011A24: D86C5500 74000015
	ds_read_b32 v117, v21 offset:21824                         // 000000011A2C: D86C5540 75000015
	ds_read_b32 v120, v21 offset:23936                         // 000000011A34: D86C5D80 78000015
	ds_read_b32 v121, v21 offset:24000                         // 000000011A3C: D86C5DC0 79000015
	ds_read_b32 v124, v21 offset:26112                         // 000000011A44: D86C6600 7C000015
	ds_read_b32 v125, v21 offset:26176                         // 000000011A4C: D86C6640 7D000015
	ds_read_b32 v128, v21 offset:28288                         // 000000011A54: D86C6E80 80000015
	ds_read_b32 v129, v21 offset:28352                         // 000000011A5C: D86C6EC0 81000015
	s_waitcnt lgkmcnt(0)                                       // 000000011A64: BF8CC07F
	s_mov_b32 s36, -1                                          // 000000011A68: BEA400C1
	s_mov_b32 s37, -1                                          // 000000011A6C: BEA500C1
	v_mov_b32_e32 v7, 0                                        // 000000011A70: 7E0E0280
	s_mov_b64 exec, s[36:37]                                   // 000000011A74: BEFE0124
	v_mov_b32_e32 v6, v58                                      // 000000011A78: 7E0C033A
	s_mov_b64 s[60:61], 0                                      // 000000011A7C: BEBC0180
	v_readlane_b32 s82, v3, 0                                  // 000000011A80: D2890052 00010103
	s_and_b32 s82, s82, 0xffffff                               // 000000011A88: 8652FF52 00FFFFFF
	s_cmp_lt_u32 s82, s66                                      // 000000011A90: BF0A4252
	s_cselect_b32 s20, s36, s60                                // 000000011A94: 85143C24
	v_readlane_b32 s82, v3, 1                                  // 000000011A98: D2890052 00010303
	s_and_b32 s82, s82, 0xffffff                               // 000000011AA0: 8652FF52 00FFFFFF
	s_cmp_lt_u32 s82, s66                                      // 000000011AA8: BF0A4252
	s_cselect_b32 s21, s36, s60                                // 000000011AAC: 85153C24
	s_mov_b64 exec, s[20:21]                                   // 000000011AB0: BEFE0114
	global_atomic_add_f32 v6, v76, s[8:9]                      // 000000011AB4: DD348000 00084C06
	global_atomic_add_f32 v6, v80, s[8:9] offset:256           // 000000011ABC: DD348100 00085006
	s_mov_b64 exec, s[36:37]                                   // 000000011AC4: BEFE0124
	v_mov_b32_e32 v6, v59                                      // 000000011AC8: 7E0C033B
	s_mov_b64 s[60:61], 0                                      // 000000011ACC: BEBC0180
	v_readlane_b32 s82, v3, 2                                  // 000000011AD0: D2890052 00010503
	s_and_b32 s82, s82, 0xffffff                               // 000000011AD8: 8652FF52 00FFFFFF
	s_cmp_lt_u32 s82, s66                                      // 000000011AE0: BF0A4252
	s_cselect_b32 s20, s36, s60                                // 000000011AE4: 85143C24
	v_readlane_b32 s82, v3, 3                                  // 000000011AE8: D2890052 00010703
	s_and_b32 s82, s82, 0xffffff                               // 000000011AF0: 8652FF52 00FFFFFF
	s_cmp_lt_u32 s82, s66                                      // 000000011AF8: BF0A4252
	s_cselect_b32 s21, s36, s60                                // 000000011AFC: 85153C24
	s_mov_b64 exec, s[20:21]                                   // 000000011B00: BEFE0114
	global_atomic_add_f32 v6, v77, s[8:9]                      // 000000011B04: DD348000 00084D06
	global_atomic_add_f32 v6, v81, s[8:9] offset:256           // 000000011B0C: DD348100 00085106
	s_mov_b64 exec, s[36:37]                                   // 000000011B14: BEFE0124
	v_mov_b32_e32 v6, v60                                      // 000000011B18: 7E0C033C
	s_mov_b64 s[60:61], 0                                      // 000000011B1C: BEBC0180
	v_readlane_b32 s82, v3, 4                                  // 000000011B20: D2890052 00010903
	s_and_b32 s82, s82, 0xffffff                               // 000000011B28: 8652FF52 00FFFFFF
	s_cmp_lt_u32 s82, s66                                      // 000000011B30: BF0A4252
	s_cselect_b32 s20, s36, s60                                // 000000011B34: 85143C24
	v_readlane_b32 s82, v3, 5                                  // 000000011B38: D2890052 00010B03
	s_and_b32 s82, s82, 0xffffff                               // 000000011B40: 8652FF52 00FFFFFF
	s_cmp_lt_u32 s82, s66                                      // 000000011B48: BF0A4252
	s_cselect_b32 s21, s36, s60                                // 000000011B4C: 85153C24
	s_mov_b64 exec, s[20:21]                                   // 000000011B50: BEFE0114
	global_atomic_add_f32 v6, v84, s[8:9]                      // 000000011B54: DD348000 00085406
	global_atomic_add_f32 v6, v88, s[8:9] offset:256           // 000000011B5C: DD348100 00085806
	s_mov_b64 exec, s[36:37]                                   // 000000011B64: BEFE0124
	v_mov_b32_e32 v6, v61                                      // 000000011B68: 7E0C033D
	s_mov_b64 s[60:61], 0                                      // 000000011B6C: BEBC0180
	v_readlane_b32 s82, v3, 6                                  // 000000011B70: D2890052 00010D03
	s_and_b32 s82, s82, 0xffffff                               // 000000011B78: 8652FF52 00FFFFFF
	s_cmp_lt_u32 s82, s66                                      // 000000011B80: BF0A4252
	s_cselect_b32 s20, s36, s60                                // 000000011B84: 85143C24
	v_readlane_b32 s82, v3, 7                                  // 000000011B88: D2890052 00010F03
	s_and_b32 s82, s82, 0xffffff                               // 000000011B90: 8652FF52 00FFFFFF
	s_cmp_lt_u32 s82, s66                                      // 000000011B98: BF0A4252
	s_cselect_b32 s21, s36, s60                                // 000000011B9C: 85153C24
	s_mov_b64 exec, s[20:21]                                   // 000000011BA0: BEFE0114
	global_atomic_add_f32 v6, v85, s[8:9]                      // 000000011BA4: DD348000 00085506
	global_atomic_add_f32 v6, v89, s[8:9] offset:256           // 000000011BAC: DD348100 00085906
	s_mov_b64 exec, s[36:37]                                   // 000000011BB4: BEFE0124
	v_mov_b32_e32 v6, v62                                      // 000000011BB8: 7E0C033E
	s_mov_b64 s[60:61], 0                                      // 000000011BBC: BEBC0180
	v_readlane_b32 s82, v3, 8                                  // 000000011BC0: D2890052 00011103
	s_and_b32 s82, s82, 0xffffff                               // 000000011BC8: 8652FF52 00FFFFFF
	s_cmp_lt_u32 s82, s66                                      // 000000011BD0: BF0A4252
	s_cselect_b32 s20, s36, s60                                // 000000011BD4: 85143C24
	v_readlane_b32 s82, v3, 9                                  // 000000011BD8: D2890052 00011303
	s_and_b32 s82, s82, 0xffffff                               // 000000011BE0: 8652FF52 00FFFFFF
	s_cmp_lt_u32 s82, s66                                      // 000000011BE8: BF0A4252
	s_cselect_b32 s21, s36, s60                                // 000000011BEC: 85153C24
	s_mov_b64 exec, s[20:21]                                   // 000000011BF0: BEFE0114
	global_atomic_add_f32 v6, v92, s[8:9]                      // 000000011BF4: DD348000 00085C06
	global_atomic_add_f32 v6, v96, s[8:9] offset:256           // 000000011BFC: DD348100 00086006
	s_mov_b64 exec, s[36:37]                                   // 000000011C04: BEFE0124
	v_mov_b32_e32 v6, v63                                      // 000000011C08: 7E0C033F
	s_mov_b64 s[60:61], 0                                      // 000000011C0C: BEBC0180
	v_readlane_b32 s82, v3, 10                                 // 000000011C10: D2890052 00011503
	s_and_b32 s82, s82, 0xffffff                               // 000000011C18: 8652FF52 00FFFFFF
	s_cmp_lt_u32 s82, s66                                      // 000000011C20: BF0A4252
	s_cselect_b32 s20, s36, s60                                // 000000011C24: 85143C24
	v_readlane_b32 s82, v3, 11                                 // 000000011C28: D2890052 00011703
	s_and_b32 s82, s82, 0xffffff                               // 000000011C30: 8652FF52 00FFFFFF
	s_cmp_lt_u32 s82, s66                                      // 000000011C38: BF0A4252
	s_cselect_b32 s21, s36, s60                                // 000000011C3C: 85153C24
	s_mov_b64 exec, s[20:21]                                   // 000000011C40: BEFE0114
	global_atomic_add_f32 v6, v93, s[8:9]                      // 000000011C44: DD348000 00085D06
	global_atomic_add_f32 v6, v97, s[8:9] offset:256           // 000000011C4C: DD348100 00086106
	s_mov_b64 exec, s[36:37]                                   // 000000011C54: BEFE0124
	v_mov_b32_e32 v6, v64                                      // 000000011C58: 7E0C0340
	s_mov_b64 s[60:61], 0                                      // 000000011C5C: BEBC0180
	v_readlane_b32 s82, v3, 12                                 // 000000011C60: D2890052 00011903
	s_and_b32 s82, s82, 0xffffff                               // 000000011C68: 8652FF52 00FFFFFF
	s_cmp_lt_u32 s82, s66                                      // 000000011C70: BF0A4252
	s_cselect_b32 s20, s36, s60                                // 000000011C74: 85143C24
	v_readlane_b32 s82, v3, 13                                 // 000000011C78: D2890052 00011B03
	s_and_b32 s82, s82, 0xffffff                               // 000000011C80: 8652FF52 00FFFFFF
	s_cmp_lt_u32 s82, s66                                      // 000000011C88: BF0A4252
	s_cselect_b32 s21, s36, s60                                // 000000011C8C: 85153C24
	s_mov_b64 exec, s[20:21]                                   // 000000011C90: BEFE0114
	global_atomic_add_f32 v6, v100, s[8:9]                     // 000000011C94: DD348000 00086406
	global_atomic_add_f32 v6, v104, s[8:9] offset:256          // 000000011C9C: DD348100 00086806
	s_mov_b64 exec, s[36:37]                                   // 000000011CA4: BEFE0124
	v_mov_b32_e32 v6, v65                                      // 000000011CA8: 7E0C0341
	s_mov_b64 s[60:61], 0                                      // 000000011CAC: BEBC0180
	v_readlane_b32 s82, v3, 14                                 // 000000011CB0: D2890052 00011D03
	s_and_b32 s82, s82, 0xffffff                               // 000000011CB8: 8652FF52 00FFFFFF
	s_cmp_lt_u32 s82, s66                                      // 000000011CC0: BF0A4252
	s_cselect_b32 s20, s36, s60                                // 000000011CC4: 85143C24
	v_readlane_b32 s82, v3, 15                                 // 000000011CC8: D2890052 00011F03
	s_and_b32 s82, s82, 0xffffff                               // 000000011CD0: 8652FF52 00FFFFFF
	s_cmp_lt_u32 s82, s66                                      // 000000011CD8: BF0A4252
	s_cselect_b32 s21, s36, s60                                // 000000011CDC: 85153C24
	s_mov_b64 exec, s[20:21]                                   // 000000011CE0: BEFE0114
	global_atomic_add_f32 v6, v101, s[8:9]                     // 000000011CE4: DD348000 00086506
	global_atomic_add_f32 v6, v105, s[8:9] offset:256          // 000000011CEC: DD348100 00086906
	s_mov_b64 exec, s[36:37]                                   // 000000011CF4: BEFE0124
	v_mov_b32_e32 v6, v66                                      // 000000011CF8: 7E0C0342
	s_mov_b64 s[60:61], 0                                      // 000000011CFC: BEBC0180
	v_readlane_b32 s82, v3, 16                                 // 000000011D00: D2890052 00012103
	s_and_b32 s82, s82, 0xffffff                               // 000000011D08: 8652FF52 00FFFFFF
	s_cmp_lt_u32 s82, s66                                      // 000000011D10: BF0A4252
	s_cselect_b32 s20, s36, s60                                // 000000011D14: 85143C24
	v_readlane_b32 s82, v3, 17                                 // 000000011D18: D2890052 00012303
	s_and_b32 s82, s82, 0xffffff                               // 000000011D20: 8652FF52 00FFFFFF
	s_cmp_lt_u32 s82, s66                                      // 000000011D28: BF0A4252
	s_cselect_b32 s21, s36, s60                                // 000000011D2C: 85153C24
	s_mov_b64 exec, s[20:21]                                   // 000000011D30: BEFE0114
	global_atomic_add_f32 v6, v108, s[8:9]                     // 000000011D34: DD348000 00086C06
	global_atomic_add_f32 v6, v112, s[8:9] offset:256          // 000000011D3C: DD348100 00087006
	s_mov_b64 exec, s[36:37]                                   // 000000011D44: BEFE0124
	v_mov_b32_e32 v6, v67                                      // 000000011D48: 7E0C0343
	s_mov_b64 s[60:61], 0                                      // 000000011D4C: BEBC0180
	v_readlane_b32 s82, v3, 18                                 // 000000011D50: D2890052 00012503
	s_and_b32 s82, s82, 0xffffff                               // 000000011D58: 8652FF52 00FFFFFF
	s_cmp_lt_u32 s82, s66                                      // 000000011D60: BF0A4252
	s_cselect_b32 s20, s36, s60                                // 000000011D64: 85143C24
	v_readlane_b32 s82, v3, 19                                 // 000000011D68: D2890052 00012703
	s_and_b32 s82, s82, 0xffffff                               // 000000011D70: 8652FF52 00FFFFFF
	s_cmp_lt_u32 s82, s66                                      // 000000011D78: BF0A4252
	s_cselect_b32 s21, s36, s60                                // 000000011D7C: 85153C24
	s_mov_b64 exec, s[20:21]                                   // 000000011D80: BEFE0114
	global_atomic_add_f32 v6, v109, s[8:9]                     // 000000011D84: DD348000 00086D06
	global_atomic_add_f32 v6, v113, s[8:9] offset:256          // 000000011D8C: DD348100 00087106
	s_mov_b64 exec, s[36:37]                                   // 000000011D94: BEFE0124
	v_mov_b32_e32 v6, v68                                      // 000000011D98: 7E0C0344
	s_mov_b64 s[60:61], 0                                      // 000000011D9C: BEBC0180
	v_readlane_b32 s82, v3, 20                                 // 000000011DA0: D2890052 00012903
	s_and_b32 s82, s82, 0xffffff                               // 000000011DA8: 8652FF52 00FFFFFF
	s_cmp_lt_u32 s82, s66                                      // 000000011DB0: BF0A4252
	s_cselect_b32 s20, s36, s60                                // 000000011DB4: 85143C24
	v_readlane_b32 s82, v3, 21                                 // 000000011DB8: D2890052 00012B03
	s_and_b32 s82, s82, 0xffffff                               // 000000011DC0: 8652FF52 00FFFFFF
	s_cmp_lt_u32 s82, s66                                      // 000000011DC8: BF0A4252
	s_cselect_b32 s21, s36, s60                                // 000000011DCC: 85153C24
	s_mov_b64 exec, s[20:21]                                   // 000000011DD0: BEFE0114
	global_atomic_add_f32 v6, v116, s[8:9]                     // 000000011DD4: DD348000 00087406
	global_atomic_add_f32 v6, v120, s[8:9] offset:256          // 000000011DDC: DD348100 00087806
	s_mov_b64 exec, s[36:37]                                   // 000000011DE4: BEFE0124
	v_mov_b32_e32 v6, v69                                      // 000000011DE8: 7E0C0345
	s_mov_b64 s[60:61], 0                                      // 000000011DEC: BEBC0180
	v_readlane_b32 s82, v3, 22                                 // 000000011DF0: D2890052 00012D03
	s_and_b32 s82, s82, 0xffffff                               // 000000011DF8: 8652FF52 00FFFFFF
	s_cmp_lt_u32 s82, s66                                      // 000000011E00: BF0A4252
	s_cselect_b32 s20, s36, s60                                // 000000011E04: 85143C24
	v_readlane_b32 s82, v3, 23                                 // 000000011E08: D2890052 00012F03
	s_and_b32 s82, s82, 0xffffff                               // 000000011E10: 8652FF52 00FFFFFF
	s_cmp_lt_u32 s82, s66                                      // 000000011E18: BF0A4252
	s_cselect_b32 s21, s36, s60                                // 000000011E1C: 85153C24
	s_mov_b64 exec, s[20:21]                                   // 000000011E20: BEFE0114
	global_atomic_add_f32 v6, v117, s[8:9]                     // 000000011E24: DD348000 00087506
	global_atomic_add_f32 v6, v121, s[8:9] offset:256          // 000000011E2C: DD348100 00087906
	s_mov_b64 exec, s[36:37]                                   // 000000011E34: BEFE0124
	v_mov_b32_e32 v6, v70                                      // 000000011E38: 7E0C0346
	s_mov_b64 s[60:61], 0                                      // 000000011E3C: BEBC0180
	v_readlane_b32 s82, v3, 24                                 // 000000011E40: D2890052 00013103
	s_and_b32 s82, s82, 0xffffff                               // 000000011E48: 8652FF52 00FFFFFF
	s_cmp_lt_u32 s82, s66                                      // 000000011E50: BF0A4252
	s_cselect_b32 s20, s36, s60                                // 000000011E54: 85143C24
	v_readlane_b32 s82, v3, 25                                 // 000000011E58: D2890052 00013303
	s_and_b32 s82, s82, 0xffffff                               // 000000011E60: 8652FF52 00FFFFFF
	s_cmp_lt_u32 s82, s66                                      // 000000011E68: BF0A4252
	s_cselect_b32 s21, s36, s60                                // 000000011E6C: 85153C24
	s_mov_b64 exec, s[20:21]                                   // 000000011E70: BEFE0114
	global_atomic_add_f32 v6, v124, s[8:9]                     // 000000011E74: DD348000 00087C06
	global_atomic_add_f32 v6, v128, s[8:9] offset:256          // 000000011E7C: DD348100 00088006
	s_mov_b64 exec, s[36:37]                                   // 000000011E84: BEFE0124
	v_mov_b32_e32 v6, v71                                      // 000000011E88: 7E0C0347
	s_mov_b64 s[60:61], 0                                      // 000000011E8C: BEBC0180
	v_readlane_b32 s82, v3, 26                                 // 000000011E90: D2890052 00013503
	s_and_b32 s82, s82, 0xffffff                               // 000000011E98: 8652FF52 00FFFFFF
	s_cmp_lt_u32 s82, s66                                      // 000000011EA0: BF0A4252
	s_cselect_b32 s20, s36, s60                                // 000000011EA4: 85143C24
	v_readlane_b32 s82, v3, 27                                 // 000000011EA8: D2890052 00013703
	s_and_b32 s82, s82, 0xffffff                               // 000000011EB0: 8652FF52 00FFFFFF
	s_cmp_lt_u32 s82, s66                                      // 000000011EB8: BF0A4252
	s_cselect_b32 s21, s36, s60                                // 000000011EBC: 85153C24
	s_mov_b64 exec, s[20:21]                                   // 000000011EC0: BEFE0114
	global_atomic_add_f32 v6, v125, s[8:9]                     // 000000011EC4: DD348000 00087D06
	global_atomic_add_f32 v6, v129, s[8:9] offset:256          // 000000011ECC: DD348100 00088106
	s_mov_b64 exec, s[36:37]                                   // 000000011ED4: BEFE0124
	ds_write_b64 v20, v[78:79]                                 // 000000011ED8: D89A0000 00004E14
	ds_write_b64 v20, v[82:83] offset:4352                     // 000000011EE0: D89A1100 00005214
	ds_write_b64 v20, v[86:87] offset:8704                     // 000000011EE8: D89A2200 00005614
	ds_write_b64 v20, v[90:91] offset:13056                    // 000000011EF0: D89A3300 00005A14
	ds_write_b64 v20, v[94:95] offset:17408                    // 000000011EF8: D89A4400 00005E14
	ds_write_b64 v20, v[98:99] offset:21760                    // 000000011F00: D89A5500 00006214
	ds_write_b64 v20, v[102:103] offset:26112                  // 000000011F08: D89A6600 00006614
	ds_write_b64 v20, v[106:107] offset:2176                   // 000000011F10: D89A0880 00006A14
	ds_write_b64 v20, v[110:111] offset:6528                   // 000000011F18: D89A1980 00006E14
	ds_write_b64 v20, v[114:115] offset:10880                  // 000000011F20: D89A2A80 00007214
	ds_write_b64 v20, v[118:119] offset:15232                  // 000000011F28: D89A3B80 00007614
	ds_write_b64 v20, v[122:123] offset:19584                  // 000000011F30: D89A4C80 00007A14
	ds_write_b64 v20, v[126:127] offset:23936                  // 000000011F38: D89A5D80 00007E14
	ds_write_b64 v20, v[130:131] offset:28288                  // 000000011F40: D89A6E80 00008214
	s_waitcnt lgkmcnt(0)                                       // 000000011F48: BF8CC07F
	s_barrier                                                  // 000000011F4C: BF8A0000
	ds_read_b32 v78, v21                                       // 000000011F50: D86C0000 4E000015
	ds_read_b32 v79, v21 offset:64                             // 000000011F58: D86C0040 4F000015
	ds_read_b32 v82, v21 offset:2176                           // 000000011F60: D86C0880 52000015
	ds_read_b32 v83, v21 offset:2240                           // 000000011F68: D86C08C0 53000015
	ds_read_b32 v86, v21 offset:4352                           // 000000011F70: D86C1100 56000015
	ds_read_b32 v87, v21 offset:4416                           // 000000011F78: D86C1140 57000015
	ds_read_b32 v90, v21 offset:6528                           // 000000011F80: D86C1980 5A000015
	ds_read_b32 v91, v21 offset:6592                           // 000000011F88: D86C19C0 5B000015
	ds_read_b32 v94, v21 offset:8704                           // 000000011F90: D86C2200 5E000015
	ds_read_b32 v95, v21 offset:8768                           // 000000011F98: D86C2240 5F000015
	ds_read_b32 v98, v21 offset:10880                          // 000000011FA0: D86C2A80 62000015
	ds_read_b32 v99, v21 offset:10944                          // 000000011FA8: D86C2AC0 63000015
	ds_read_b32 v102, v21 offset:13056                         // 000000011FB0: D86C3300 66000015
	ds_read_b32 v103, v21 offset:13120                         // 000000011FB8: D86C3340 67000015
	ds_read_b32 v106, v21 offset:15232                         // 000000011FC0: D86C3B80 6A000015
	ds_read_b32 v107, v21 offset:15296                         // 000000011FC8: D86C3BC0 6B000015
	ds_read_b32 v110, v21 offset:17408                         // 000000011FD0: D86C4400 6E000015
	ds_read_b32 v111, v21 offset:17472                         // 000000011FD8: D86C4440 6F000015
	ds_read_b32 v114, v21 offset:19584                         // 000000011FE0: D86C4C80 72000015
	ds_read_b32 v115, v21 offset:19648                         // 000000011FE8: D86C4CC0 73000015
	ds_read_b32 v118, v21 offset:21760                         // 000000011FF0: D86C5500 76000015
	ds_read_b32 v119, v21 offset:21824                         // 000000011FF8: D86C5540 77000015
	ds_read_b32 v122, v21 offset:23936                         // 000000012000: D86C5D80 7A000015
	ds_read_b32 v123, v21 offset:24000                         // 000000012008: D86C5DC0 7B000015
	ds_read_b32 v126, v21 offset:26112                         // 000000012010: D86C6600 7E000015
	ds_read_b32 v127, v21 offset:26176                         // 000000012018: D86C6640 7F000015
	ds_read_b32 v130, v21 offset:28288                         // 000000012020: D86C6E80 82000015
	ds_read_b32 v131, v21 offset:28352                         // 000000012028: D86C6EC0 83000015
	s_waitcnt lgkmcnt(0)                                       // 000000012030: BF8CC07F
	v_mov_b32_e32 v7, 0                                        // 000000012034: 7E0E0280
	s_mov_b64 exec, s[36:37]                                   // 000000012038: BEFE0124
	v_mov_b32_e32 v6, v58                                      // 00000001203C: 7E0C033A
	s_mov_b64 s[60:61], 0                                      // 000000012040: BEBC0180
	v_readlane_b32 s82, v3, 0                                  // 000000012044: D2890052 00010103
	s_and_b32 s82, s82, 0xffffff                               // 00000001204C: 8652FF52 00FFFFFF
	s_cmp_lt_u32 s82, s66                                      // 000000012054: BF0A4252
	s_cselect_b32 s20, s36, s60                                // 000000012058: 85143C24
	v_readlane_b32 s82, v3, 1                                  // 00000001205C: D2890052 00010303
	s_and_b32 s82, s82, 0xffffff                               // 000000012064: 8652FF52 00FFFFFF
	s_cmp_lt_u32 s82, s66                                      // 00000001206C: BF0A4252
	s_cselect_b32 s21, s36, s60                                // 000000012070: 85153C24
	s_mov_b64 exec, s[20:21]                                   // 000000012074: BEFE0114
	global_atomic_add_f32 v6, v78, s[8:9] offset:8             // 000000012078: DD348008 00084E06
	global_atomic_add_f32 v6, v82, s[8:9] offset:264           // 000000012080: DD348108 00085206
	s_mov_b64 exec, s[36:37]                                   // 000000012088: BEFE0124
	v_mov_b32_e32 v6, v59                                      // 00000001208C: 7E0C033B
	s_mov_b64 s[60:61], 0                                      // 000000012090: BEBC0180
	v_readlane_b32 s82, v3, 2                                  // 000000012094: D2890052 00010503
	s_and_b32 s82, s82, 0xffffff                               // 00000001209C: 8652FF52 00FFFFFF
	s_cmp_lt_u32 s82, s66                                      // 0000000120A4: BF0A4252
	s_cselect_b32 s20, s36, s60                                // 0000000120A8: 85143C24
	v_readlane_b32 s82, v3, 3                                  // 0000000120AC: D2890052 00010703
	s_and_b32 s82, s82, 0xffffff                               // 0000000120B4: 8652FF52 00FFFFFF
	s_cmp_lt_u32 s82, s66                                      // 0000000120BC: BF0A4252
	s_cselect_b32 s21, s36, s60                                // 0000000120C0: 85153C24
	s_mov_b64 exec, s[20:21]                                   // 0000000120C4: BEFE0114
	global_atomic_add_f32 v6, v79, s[8:9] offset:8             // 0000000120C8: DD348008 00084F06
	global_atomic_add_f32 v6, v83, s[8:9] offset:264           // 0000000120D0: DD348108 00085306
	s_mov_b64 exec, s[36:37]                                   // 0000000120D8: BEFE0124
	v_mov_b32_e32 v6, v60                                      // 0000000120DC: 7E0C033C
	s_mov_b64 s[60:61], 0                                      // 0000000120E0: BEBC0180
	v_readlane_b32 s82, v3, 4                                  // 0000000120E4: D2890052 00010903
	s_and_b32 s82, s82, 0xffffff                               // 0000000120EC: 8652FF52 00FFFFFF
	s_cmp_lt_u32 s82, s66                                      // 0000000120F4: BF0A4252
	s_cselect_b32 s20, s36, s60                                // 0000000120F8: 85143C24
	v_readlane_b32 s82, v3, 5                                  // 0000000120FC: D2890052 00010B03
	s_and_b32 s82, s82, 0xffffff                               // 000000012104: 8652FF52 00FFFFFF
	s_cmp_lt_u32 s82, s66                                      // 00000001210C: BF0A4252
	s_cselect_b32 s21, s36, s60                                // 000000012110: 85153C24
	s_mov_b64 exec, s[20:21]                                   // 000000012114: BEFE0114
	global_atomic_add_f32 v6, v86, s[8:9] offset:8             // 000000012118: DD348008 00085606
	global_atomic_add_f32 v6, v90, s[8:9] offset:264           // 000000012120: DD348108 00085A06
	s_mov_b64 exec, s[36:37]                                   // 000000012128: BEFE0124
	v_mov_b32_e32 v6, v61                                      // 00000001212C: 7E0C033D
	s_mov_b64 s[60:61], 0                                      // 000000012130: BEBC0180
	v_readlane_b32 s82, v3, 6                                  // 000000012134: D2890052 00010D03
	s_and_b32 s82, s82, 0xffffff                               // 00000001213C: 8652FF52 00FFFFFF
	s_cmp_lt_u32 s82, s66                                      // 000000012144: BF0A4252
	s_cselect_b32 s20, s36, s60                                // 000000012148: 85143C24
	v_readlane_b32 s82, v3, 7                                  // 00000001214C: D2890052 00010F03
	s_and_b32 s82, s82, 0xffffff                               // 000000012154: 8652FF52 00FFFFFF
	s_cmp_lt_u32 s82, s66                                      // 00000001215C: BF0A4252
	s_cselect_b32 s21, s36, s60                                // 000000012160: 85153C24
	s_mov_b64 exec, s[20:21]                                   // 000000012164: BEFE0114
	global_atomic_add_f32 v6, v87, s[8:9] offset:8             // 000000012168: DD348008 00085706
	global_atomic_add_f32 v6, v91, s[8:9] offset:264           // 000000012170: DD348108 00085B06
	s_mov_b64 exec, s[36:37]                                   // 000000012178: BEFE0124
	v_mov_b32_e32 v6, v62                                      // 00000001217C: 7E0C033E
	s_mov_b64 s[60:61], 0                                      // 000000012180: BEBC0180
	v_readlane_b32 s82, v3, 8                                  // 000000012184: D2890052 00011103
	s_and_b32 s82, s82, 0xffffff                               // 00000001218C: 8652FF52 00FFFFFF
	s_cmp_lt_u32 s82, s66                                      // 000000012194: BF0A4252
	s_cselect_b32 s20, s36, s60                                // 000000012198: 85143C24
	v_readlane_b32 s82, v3, 9                                  // 00000001219C: D2890052 00011303
	s_and_b32 s82, s82, 0xffffff                               // 0000000121A4: 8652FF52 00FFFFFF
	s_cmp_lt_u32 s82, s66                                      // 0000000121AC: BF0A4252
	s_cselect_b32 s21, s36, s60                                // 0000000121B0: 85153C24
	s_mov_b64 exec, s[20:21]                                   // 0000000121B4: BEFE0114
	global_atomic_add_f32 v6, v94, s[8:9] offset:8             // 0000000121B8: DD348008 00085E06
	global_atomic_add_f32 v6, v98, s[8:9] offset:264           // 0000000121C0: DD348108 00086206
	s_mov_b64 exec, s[36:37]                                   // 0000000121C8: BEFE0124
	v_mov_b32_e32 v6, v63                                      // 0000000121CC: 7E0C033F
	s_mov_b64 s[60:61], 0                                      // 0000000121D0: BEBC0180
	v_readlane_b32 s82, v3, 10                                 // 0000000121D4: D2890052 00011503
	s_and_b32 s82, s82, 0xffffff                               // 0000000121DC: 8652FF52 00FFFFFF
	s_cmp_lt_u32 s82, s66                                      // 0000000121E4: BF0A4252
	s_cselect_b32 s20, s36, s60                                // 0000000121E8: 85143C24
	v_readlane_b32 s82, v3, 11                                 // 0000000121EC: D2890052 00011703
	s_and_b32 s82, s82, 0xffffff                               // 0000000121F4: 8652FF52 00FFFFFF
	s_cmp_lt_u32 s82, s66                                      // 0000000121FC: BF0A4252
	s_cselect_b32 s21, s36, s60                                // 000000012200: 85153C24
	s_mov_b64 exec, s[20:21]                                   // 000000012204: BEFE0114
	global_atomic_add_f32 v6, v95, s[8:9] offset:8             // 000000012208: DD348008 00085F06
	global_atomic_add_f32 v6, v99, s[8:9] offset:264           // 000000012210: DD348108 00086306
	s_mov_b64 exec, s[36:37]                                   // 000000012218: BEFE0124
	v_mov_b32_e32 v6, v64                                      // 00000001221C: 7E0C0340
	s_mov_b64 s[60:61], 0                                      // 000000012220: BEBC0180
	v_readlane_b32 s82, v3, 12                                 // 000000012224: D2890052 00011903
	s_and_b32 s82, s82, 0xffffff                               // 00000001222C: 8652FF52 00FFFFFF
	s_cmp_lt_u32 s82, s66                                      // 000000012234: BF0A4252
	s_cselect_b32 s20, s36, s60                                // 000000012238: 85143C24
	v_readlane_b32 s82, v3, 13                                 // 00000001223C: D2890052 00011B03
	s_and_b32 s82, s82, 0xffffff                               // 000000012244: 8652FF52 00FFFFFF
	s_cmp_lt_u32 s82, s66                                      // 00000001224C: BF0A4252
	s_cselect_b32 s21, s36, s60                                // 000000012250: 85153C24
	s_mov_b64 exec, s[20:21]                                   // 000000012254: BEFE0114
	global_atomic_add_f32 v6, v102, s[8:9] offset:8            // 000000012258: DD348008 00086606
	global_atomic_add_f32 v6, v106, s[8:9] offset:264          // 000000012260: DD348108 00086A06
	s_mov_b64 exec, s[36:37]                                   // 000000012268: BEFE0124
	v_mov_b32_e32 v6, v65                                      // 00000001226C: 7E0C0341
	s_mov_b64 s[60:61], 0                                      // 000000012270: BEBC0180
	v_readlane_b32 s82, v3, 14                                 // 000000012274: D2890052 00011D03
	s_and_b32 s82, s82, 0xffffff                               // 00000001227C: 8652FF52 00FFFFFF
	s_cmp_lt_u32 s82, s66                                      // 000000012284: BF0A4252
	s_cselect_b32 s20, s36, s60                                // 000000012288: 85143C24
	v_readlane_b32 s82, v3, 15                                 // 00000001228C: D2890052 00011F03
	s_and_b32 s82, s82, 0xffffff                               // 000000012294: 8652FF52 00FFFFFF
	s_cmp_lt_u32 s82, s66                                      // 00000001229C: BF0A4252
	s_cselect_b32 s21, s36, s60                                // 0000000122A0: 85153C24
	s_mov_b64 exec, s[20:21]                                   // 0000000122A4: BEFE0114
	global_atomic_add_f32 v6, v103, s[8:9] offset:8            // 0000000122A8: DD348008 00086706
	global_atomic_add_f32 v6, v107, s[8:9] offset:264          // 0000000122B0: DD348108 00086B06
	s_mov_b64 exec, s[36:37]                                   // 0000000122B8: BEFE0124
	v_mov_b32_e32 v6, v66                                      // 0000000122BC: 7E0C0342
	s_mov_b64 s[60:61], 0                                      // 0000000122C0: BEBC0180
	v_readlane_b32 s82, v3, 16                                 // 0000000122C4: D2890052 00012103
	s_and_b32 s82, s82, 0xffffff                               // 0000000122CC: 8652FF52 00FFFFFF
	s_cmp_lt_u32 s82, s66                                      // 0000000122D4: BF0A4252
	s_cselect_b32 s20, s36, s60                                // 0000000122D8: 85143C24
	v_readlane_b32 s82, v3, 17                                 // 0000000122DC: D2890052 00012303
	s_and_b32 s82, s82, 0xffffff                               // 0000000122E4: 8652FF52 00FFFFFF
	s_cmp_lt_u32 s82, s66                                      // 0000000122EC: BF0A4252
	s_cselect_b32 s21, s36, s60                                // 0000000122F0: 85153C24
	s_mov_b64 exec, s[20:21]                                   // 0000000122F4: BEFE0114
	global_atomic_add_f32 v6, v110, s[8:9] offset:8            // 0000000122F8: DD348008 00086E06
	global_atomic_add_f32 v6, v114, s[8:9] offset:264          // 000000012300: DD348108 00087206
	s_mov_b64 exec, s[36:37]                                   // 000000012308: BEFE0124
	v_mov_b32_e32 v6, v67                                      // 00000001230C: 7E0C0343
	s_mov_b64 s[60:61], 0                                      // 000000012310: BEBC0180
	v_readlane_b32 s82, v3, 18                                 // 000000012314: D2890052 00012503
	s_and_b32 s82, s82, 0xffffff                               // 00000001231C: 8652FF52 00FFFFFF
	s_cmp_lt_u32 s82, s66                                      // 000000012324: BF0A4252
	s_cselect_b32 s20, s36, s60                                // 000000012328: 85143C24
	v_readlane_b32 s82, v3, 19                                 // 00000001232C: D2890052 00012703
	s_and_b32 s82, s82, 0xffffff                               // 000000012334: 8652FF52 00FFFFFF
	s_cmp_lt_u32 s82, s66                                      // 00000001233C: BF0A4252
	s_cselect_b32 s21, s36, s60                                // 000000012340: 85153C24
	s_mov_b64 exec, s[20:21]                                   // 000000012344: BEFE0114
	global_atomic_add_f32 v6, v111, s[8:9] offset:8            // 000000012348: DD348008 00086F06
	global_atomic_add_f32 v6, v115, s[8:9] offset:264          // 000000012350: DD348108 00087306
	s_mov_b64 exec, s[36:37]                                   // 000000012358: BEFE0124
	v_mov_b32_e32 v6, v68                                      // 00000001235C: 7E0C0344
	s_mov_b64 s[60:61], 0                                      // 000000012360: BEBC0180
	v_readlane_b32 s82, v3, 20                                 // 000000012364: D2890052 00012903
	s_and_b32 s82, s82, 0xffffff                               // 00000001236C: 8652FF52 00FFFFFF
	s_cmp_lt_u32 s82, s66                                      // 000000012374: BF0A4252
	s_cselect_b32 s20, s36, s60                                // 000000012378: 85143C24
	v_readlane_b32 s82, v3, 21                                 // 00000001237C: D2890052 00012B03
	s_and_b32 s82, s82, 0xffffff                               // 000000012384: 8652FF52 00FFFFFF
	s_cmp_lt_u32 s82, s66                                      // 00000001238C: BF0A4252
	s_cselect_b32 s21, s36, s60                                // 000000012390: 85153C24
	s_mov_b64 exec, s[20:21]                                   // 000000012394: BEFE0114
	global_atomic_add_f32 v6, v118, s[8:9] offset:8            // 000000012398: DD348008 00087606
	global_atomic_add_f32 v6, v122, s[8:9] offset:264          // 0000000123A0: DD348108 00087A06
	s_mov_b64 exec, s[36:37]                                   // 0000000123A8: BEFE0124
	v_mov_b32_e32 v6, v69                                      // 0000000123AC: 7E0C0345
	s_mov_b64 s[60:61], 0                                      // 0000000123B0: BEBC0180
	v_readlane_b32 s82, v3, 22                                 // 0000000123B4: D2890052 00012D03
	s_and_b32 s82, s82, 0xffffff                               // 0000000123BC: 8652FF52 00FFFFFF
	s_cmp_lt_u32 s82, s66                                      // 0000000123C4: BF0A4252
	s_cselect_b32 s20, s36, s60                                // 0000000123C8: 85143C24
	v_readlane_b32 s82, v3, 23                                 // 0000000123CC: D2890052 00012F03
	s_and_b32 s82, s82, 0xffffff                               // 0000000123D4: 8652FF52 00FFFFFF
	s_cmp_lt_u32 s82, s66                                      // 0000000123DC: BF0A4252
	s_cselect_b32 s21, s36, s60                                // 0000000123E0: 85153C24
	s_mov_b64 exec, s[20:21]                                   // 0000000123E4: BEFE0114
	global_atomic_add_f32 v6, v119, s[8:9] offset:8            // 0000000123E8: DD348008 00087706
	global_atomic_add_f32 v6, v123, s[8:9] offset:264          // 0000000123F0: DD348108 00087B06
	s_mov_b64 exec, s[36:37]                                   // 0000000123F8: BEFE0124
	v_mov_b32_e32 v6, v70                                      // 0000000123FC: 7E0C0346
	s_mov_b64 s[60:61], 0                                      // 000000012400: BEBC0180
	v_readlane_b32 s82, v3, 24                                 // 000000012404: D2890052 00013103
	s_and_b32 s82, s82, 0xffffff                               // 00000001240C: 8652FF52 00FFFFFF
	s_cmp_lt_u32 s82, s66                                      // 000000012414: BF0A4252
	s_cselect_b32 s20, s36, s60                                // 000000012418: 85143C24
	v_readlane_b32 s82, v3, 25                                 // 00000001241C: D2890052 00013303
	s_and_b32 s82, s82, 0xffffff                               // 000000012424: 8652FF52 00FFFFFF
	s_cmp_lt_u32 s82, s66                                      // 00000001242C: BF0A4252
	s_cselect_b32 s21, s36, s60                                // 000000012430: 85153C24
	s_mov_b64 exec, s[20:21]                                   // 000000012434: BEFE0114
	global_atomic_add_f32 v6, v126, s[8:9] offset:8            // 000000012438: DD348008 00087E06
	global_atomic_add_f32 v6, v130, s[8:9] offset:264          // 000000012440: DD348108 00088206
	s_mov_b64 exec, s[36:37]                                   // 000000012448: BEFE0124
	v_mov_b32_e32 v6, v71                                      // 00000001244C: 7E0C0347
	s_mov_b64 s[60:61], 0                                      // 000000012450: BEBC0180
	v_readlane_b32 s82, v3, 26                                 // 000000012454: D2890052 00013503
	s_and_b32 s82, s82, 0xffffff                               // 00000001245C: 8652FF52 00FFFFFF
	s_cmp_lt_u32 s82, s66                                      // 000000012464: BF0A4252
	s_cselect_b32 s20, s36, s60                                // 000000012468: 85143C24
	v_readlane_b32 s82, v3, 27                                 // 00000001246C: D2890052 00013703
	s_and_b32 s82, s82, 0xffffff                               // 000000012474: 8652FF52 00FFFFFF
	s_cmp_lt_u32 s82, s66                                      // 00000001247C: BF0A4252
	s_cselect_b32 s21, s36, s60                                // 000000012480: 85153C24
	s_mov_b64 exec, s[20:21]                                   // 000000012484: BEFE0114
	global_atomic_add_f32 v6, v127, s[8:9] offset:8            // 000000012488: DD348008 00087F06
	global_atomic_add_f32 v6, v131, s[8:9] offset:264          // 000000012490: DD348108 00088306
	s_mov_b64 exec, s[36:37]                                   // 000000012498: BEFE0124
	ds_write_b64 v20, v[132:133]                               // 00000001249C: D89A0000 00008414
	ds_write_b64 v20, v[136:137] offset:4352                   // 0000000124A4: D89A1100 00008814
	ds_write_b64 v20, v[140:141] offset:8704                   // 0000000124AC: D89A2200 00008C14
	ds_write_b64 v20, v[144:145] offset:13056                  // 0000000124B4: D89A3300 00009014
	ds_write_b64 v20, v[148:149] offset:17408                  // 0000000124BC: D89A4400 00009414
	ds_write_b64 v20, v[152:153] offset:21760                  // 0000000124C4: D89A5500 00009814
	ds_write_b64 v20, v[156:157] offset:26112                  // 0000000124CC: D89A6600 00009C14
	ds_write_b64 v20, v[160:161] offset:2176                   // 0000000124D4: D89A0880 0000A014
	ds_write_b64 v20, v[164:165] offset:6528                   // 0000000124DC: D89A1980 0000A414
	ds_write_b64 v20, v[168:169] offset:10880                  // 0000000124E4: D89A2A80 0000A814
	ds_write_b64 v20, v[172:173] offset:15232                  // 0000000124EC: D89A3B80 0000AC14
	ds_write_b64 v20, v[176:177] offset:19584                  // 0000000124F4: D89A4C80 0000B014
	ds_write_b64 v20, v[180:181] offset:23936                  // 0000000124FC: D89A5D80 0000B414
	ds_write_b64 v20, v[184:185] offset:28288                  // 000000012504: D89A6E80 0000B814
	s_waitcnt lgkmcnt(0)                                       // 00000001250C: BF8CC07F
	s_barrier                                                  // 000000012510: BF8A0000
	ds_read_b32 v132, v21                                      // 000000012514: D86C0000 84000015
	ds_read_b32 v133, v21 offset:64                            // 00000001251C: D86C0040 85000015
	ds_read_b32 v136, v21 offset:2176                          // 000000012524: D86C0880 88000015
	ds_read_b32 v137, v21 offset:2240                          // 00000001252C: D86C08C0 89000015
	ds_read_b32 v140, v21 offset:4352                          // 000000012534: D86C1100 8C000015
	ds_read_b32 v141, v21 offset:4416                          // 00000001253C: D86C1140 8D000015
	ds_read_b32 v144, v21 offset:6528                          // 000000012544: D86C1980 90000015
	ds_read_b32 v145, v21 offset:6592                          // 00000001254C: D86C19C0 91000015
	ds_read_b32 v148, v21 offset:8704                          // 000000012554: D86C2200 94000015
	ds_read_b32 v149, v21 offset:8768                          // 00000001255C: D86C2240 95000015
	ds_read_b32 v152, v21 offset:10880                         // 000000012564: D86C2A80 98000015
	ds_read_b32 v153, v21 offset:10944                         // 00000001256C: D86C2AC0 99000015
	ds_read_b32 v156, v21 offset:13056                         // 000000012574: D86C3300 9C000015
	ds_read_b32 v157, v21 offset:13120                         // 00000001257C: D86C3340 9D000015
	ds_read_b32 v160, v21 offset:15232                         // 000000012584: D86C3B80 A0000015
	ds_read_b32 v161, v21 offset:15296                         // 00000001258C: D86C3BC0 A1000015
	ds_read_b32 v164, v21 offset:17408                         // 000000012594: D86C4400 A4000015
	ds_read_b32 v165, v21 offset:17472                         // 00000001259C: D86C4440 A5000015
	ds_read_b32 v168, v21 offset:19584                         // 0000000125A4: D86C4C80 A8000015
	ds_read_b32 v169, v21 offset:19648                         // 0000000125AC: D86C4CC0 A9000015
	ds_read_b32 v172, v21 offset:21760                         // 0000000125B4: D86C5500 AC000015
	ds_read_b32 v173, v21 offset:21824                         // 0000000125BC: D86C5540 AD000015
	ds_read_b32 v176, v21 offset:23936                         // 0000000125C4: D86C5D80 B0000015
	ds_read_b32 v177, v21 offset:24000                         // 0000000125CC: D86C5DC0 B1000015
	ds_read_b32 v180, v21 offset:26112                         // 0000000125D4: D86C6600 B4000015
	ds_read_b32 v181, v21 offset:26176                         // 0000000125DC: D86C6640 B5000015
	ds_read_b32 v184, v21 offset:28288                         // 0000000125E4: D86C6E80 B8000015
	ds_read_b32 v185, v21 offset:28352                         // 0000000125EC: D86C6EC0 B9000015
	s_mul_i32 s60, s65, 4                                      // 0000000125F4: 923C8441
	s_add_u32 s8, s60, s8                                      // 0000000125F8: 8008083C
	s_addc_u32 s9, 0, s9                                       // 0000000125FC: 82090980
	s_waitcnt lgkmcnt(0)                                       // 000000012600: BF8CC07F
	v_mov_b32_e32 v7, 0                                        // 000000012604: 7E0E0280
	s_mov_b64 exec, s[36:37]                                   // 000000012608: BEFE0124
	v_mov_b32_e32 v6, v58                                      // 00000001260C: 7E0C033A
	s_mov_b64 s[60:61], 0                                      // 000000012610: BEBC0180
	v_readlane_b32 s82, v3, 0                                  // 000000012614: D2890052 00010103
	s_and_b32 s82, s82, 0xffffff                               // 00000001261C: 8652FF52 00FFFFFF
	s_cmp_lt_u32 s82, s66                                      // 000000012624: BF0A4252
	s_cselect_b32 s20, s36, s60                                // 000000012628: 85143C24
	v_readlane_b32 s82, v3, 1                                  // 00000001262C: D2890052 00010303
	s_and_b32 s82, s82, 0xffffff                               // 000000012634: 8652FF52 00FFFFFF
	s_cmp_lt_u32 s82, s66                                      // 00000001263C: BF0A4252
	s_cselect_b32 s21, s36, s60                                // 000000012640: 85153C24
	s_mov_b64 exec, s[20:21]                                   // 000000012644: BEFE0114
	global_atomic_add_f32 v6, v132, s[8:9]                     // 000000012648: DD348000 00088406
	global_atomic_add_f32 v6, v136, s[8:9] offset:256          // 000000012650: DD348100 00088806
	s_mov_b64 exec, s[36:37]                                   // 000000012658: BEFE0124
	v_mov_b32_e32 v6, v59                                      // 00000001265C: 7E0C033B
	s_mov_b64 s[60:61], 0                                      // 000000012660: BEBC0180
	v_readlane_b32 s82, v3, 2                                  // 000000012664: D2890052 00010503
	s_and_b32 s82, s82, 0xffffff                               // 00000001266C: 8652FF52 00FFFFFF
	s_cmp_lt_u32 s82, s66                                      // 000000012674: BF0A4252
	s_cselect_b32 s20, s36, s60                                // 000000012678: 85143C24
	v_readlane_b32 s82, v3, 3                                  // 00000001267C: D2890052 00010703
	s_and_b32 s82, s82, 0xffffff                               // 000000012684: 8652FF52 00FFFFFF
	s_cmp_lt_u32 s82, s66                                      // 00000001268C: BF0A4252
	s_cselect_b32 s21, s36, s60                                // 000000012690: 85153C24
	s_mov_b64 exec, s[20:21]                                   // 000000012694: BEFE0114
	global_atomic_add_f32 v6, v133, s[8:9]                     // 000000012698: DD348000 00088506
	global_atomic_add_f32 v6, v137, s[8:9] offset:256          // 0000000126A0: DD348100 00088906
	s_mov_b64 exec, s[36:37]                                   // 0000000126A8: BEFE0124
	v_mov_b32_e32 v6, v60                                      // 0000000126AC: 7E0C033C
	s_mov_b64 s[60:61], 0                                      // 0000000126B0: BEBC0180
	v_readlane_b32 s82, v3, 4                                  // 0000000126B4: D2890052 00010903
	s_and_b32 s82, s82, 0xffffff                               // 0000000126BC: 8652FF52 00FFFFFF
	s_cmp_lt_u32 s82, s66                                      // 0000000126C4: BF0A4252
	s_cselect_b32 s20, s36, s60                                // 0000000126C8: 85143C24
	v_readlane_b32 s82, v3, 5                                  // 0000000126CC: D2890052 00010B03
	s_and_b32 s82, s82, 0xffffff                               // 0000000126D4: 8652FF52 00FFFFFF
	s_cmp_lt_u32 s82, s66                                      // 0000000126DC: BF0A4252
	s_cselect_b32 s21, s36, s60                                // 0000000126E0: 85153C24
	s_mov_b64 exec, s[20:21]                                   // 0000000126E4: BEFE0114
	global_atomic_add_f32 v6, v140, s[8:9]                     // 0000000126E8: DD348000 00088C06
	global_atomic_add_f32 v6, v144, s[8:9] offset:256          // 0000000126F0: DD348100 00089006
	s_mov_b64 exec, s[36:37]                                   // 0000000126F8: BEFE0124
	v_mov_b32_e32 v6, v61                                      // 0000000126FC: 7E0C033D
	s_mov_b64 s[60:61], 0                                      // 000000012700: BEBC0180
	v_readlane_b32 s82, v3, 6                                  // 000000012704: D2890052 00010D03
	s_and_b32 s82, s82, 0xffffff                               // 00000001270C: 8652FF52 00FFFFFF
	s_cmp_lt_u32 s82, s66                                      // 000000012714: BF0A4252
	s_cselect_b32 s20, s36, s60                                // 000000012718: 85143C24
	v_readlane_b32 s82, v3, 7                                  // 00000001271C: D2890052 00010F03
	s_and_b32 s82, s82, 0xffffff                               // 000000012724: 8652FF52 00FFFFFF
	s_cmp_lt_u32 s82, s66                                      // 00000001272C: BF0A4252
	s_cselect_b32 s21, s36, s60                                // 000000012730: 85153C24
	s_mov_b64 exec, s[20:21]                                   // 000000012734: BEFE0114
	global_atomic_add_f32 v6, v141, s[8:9]                     // 000000012738: DD348000 00088D06
	global_atomic_add_f32 v6, v145, s[8:9] offset:256          // 000000012740: DD348100 00089106
	s_mov_b64 exec, s[36:37]                                   // 000000012748: BEFE0124
	v_mov_b32_e32 v6, v62                                      // 00000001274C: 7E0C033E
	s_mov_b64 s[60:61], 0                                      // 000000012750: BEBC0180
	v_readlane_b32 s82, v3, 8                                  // 000000012754: D2890052 00011103
	s_and_b32 s82, s82, 0xffffff                               // 00000001275C: 8652FF52 00FFFFFF
	s_cmp_lt_u32 s82, s66                                      // 000000012764: BF0A4252
	s_cselect_b32 s20, s36, s60                                // 000000012768: 85143C24
	v_readlane_b32 s82, v3, 9                                  // 00000001276C: D2890052 00011303
	s_and_b32 s82, s82, 0xffffff                               // 000000012774: 8652FF52 00FFFFFF
	s_cmp_lt_u32 s82, s66                                      // 00000001277C: BF0A4252
	s_cselect_b32 s21, s36, s60                                // 000000012780: 85153C24
	s_mov_b64 exec, s[20:21]                                   // 000000012784: BEFE0114
	global_atomic_add_f32 v6, v148, s[8:9]                     // 000000012788: DD348000 00089406
	global_atomic_add_f32 v6, v152, s[8:9] offset:256          // 000000012790: DD348100 00089806
	s_mov_b64 exec, s[36:37]                                   // 000000012798: BEFE0124
	v_mov_b32_e32 v6, v63                                      // 00000001279C: 7E0C033F
	s_mov_b64 s[60:61], 0                                      // 0000000127A0: BEBC0180
	v_readlane_b32 s82, v3, 10                                 // 0000000127A4: D2890052 00011503
	s_and_b32 s82, s82, 0xffffff                               // 0000000127AC: 8652FF52 00FFFFFF
	s_cmp_lt_u32 s82, s66                                      // 0000000127B4: BF0A4252
	s_cselect_b32 s20, s36, s60                                // 0000000127B8: 85143C24
	v_readlane_b32 s82, v3, 11                                 // 0000000127BC: D2890052 00011703
	s_and_b32 s82, s82, 0xffffff                               // 0000000127C4: 8652FF52 00FFFFFF
	s_cmp_lt_u32 s82, s66                                      // 0000000127CC: BF0A4252
	s_cselect_b32 s21, s36, s60                                // 0000000127D0: 85153C24
	s_mov_b64 exec, s[20:21]                                   // 0000000127D4: BEFE0114
	global_atomic_add_f32 v6, v149, s[8:9]                     // 0000000127D8: DD348000 00089506
	global_atomic_add_f32 v6, v153, s[8:9] offset:256          // 0000000127E0: DD348100 00089906
	s_mov_b64 exec, s[36:37]                                   // 0000000127E8: BEFE0124
	v_mov_b32_e32 v6, v64                                      // 0000000127EC: 7E0C0340
	s_mov_b64 s[60:61], 0                                      // 0000000127F0: BEBC0180
	v_readlane_b32 s82, v3, 12                                 // 0000000127F4: D2890052 00011903
	s_and_b32 s82, s82, 0xffffff                               // 0000000127FC: 8652FF52 00FFFFFF
	s_cmp_lt_u32 s82, s66                                      // 000000012804: BF0A4252
	s_cselect_b32 s20, s36, s60                                // 000000012808: 85143C24
	v_readlane_b32 s82, v3, 13                                 // 00000001280C: D2890052 00011B03
	s_and_b32 s82, s82, 0xffffff                               // 000000012814: 8652FF52 00FFFFFF
	s_cmp_lt_u32 s82, s66                                      // 00000001281C: BF0A4252
	s_cselect_b32 s21, s36, s60                                // 000000012820: 85153C24
	s_mov_b64 exec, s[20:21]                                   // 000000012824: BEFE0114
	global_atomic_add_f32 v6, v156, s[8:9]                     // 000000012828: DD348000 00089C06
	global_atomic_add_f32 v6, v160, s[8:9] offset:256          // 000000012830: DD348100 0008A006
	s_mov_b64 exec, s[36:37]                                   // 000000012838: BEFE0124
	v_mov_b32_e32 v6, v65                                      // 00000001283C: 7E0C0341
	s_mov_b64 s[60:61], 0                                      // 000000012840: BEBC0180
	v_readlane_b32 s82, v3, 14                                 // 000000012844: D2890052 00011D03
	s_and_b32 s82, s82, 0xffffff                               // 00000001284C: 8652FF52 00FFFFFF
	s_cmp_lt_u32 s82, s66                                      // 000000012854: BF0A4252
	s_cselect_b32 s20, s36, s60                                // 000000012858: 85143C24
	v_readlane_b32 s82, v3, 15                                 // 00000001285C: D2890052 00011F03
	s_and_b32 s82, s82, 0xffffff                               // 000000012864: 8652FF52 00FFFFFF
	s_cmp_lt_u32 s82, s66                                      // 00000001286C: BF0A4252
	s_cselect_b32 s21, s36, s60                                // 000000012870: 85153C24
	s_mov_b64 exec, s[20:21]                                   // 000000012874: BEFE0114
	global_atomic_add_f32 v6, v157, s[8:9]                     // 000000012878: DD348000 00089D06
	global_atomic_add_f32 v6, v161, s[8:9] offset:256          // 000000012880: DD348100 0008A106
	s_mov_b64 exec, s[36:37]                                   // 000000012888: BEFE0124
	v_mov_b32_e32 v6, v66                                      // 00000001288C: 7E0C0342
	s_mov_b64 s[60:61], 0                                      // 000000012890: BEBC0180
	v_readlane_b32 s82, v3, 16                                 // 000000012894: D2890052 00012103
	s_and_b32 s82, s82, 0xffffff                               // 00000001289C: 8652FF52 00FFFFFF
	s_cmp_lt_u32 s82, s66                                      // 0000000128A4: BF0A4252
	s_cselect_b32 s20, s36, s60                                // 0000000128A8: 85143C24
	v_readlane_b32 s82, v3, 17                                 // 0000000128AC: D2890052 00012303
	s_and_b32 s82, s82, 0xffffff                               // 0000000128B4: 8652FF52 00FFFFFF
	s_cmp_lt_u32 s82, s66                                      // 0000000128BC: BF0A4252
	s_cselect_b32 s21, s36, s60                                // 0000000128C0: 85153C24
	s_mov_b64 exec, s[20:21]                                   // 0000000128C4: BEFE0114
	global_atomic_add_f32 v6, v164, s[8:9]                     // 0000000128C8: DD348000 0008A406
	global_atomic_add_f32 v6, v168, s[8:9] offset:256          // 0000000128D0: DD348100 0008A806
	s_mov_b64 exec, s[36:37]                                   // 0000000128D8: BEFE0124
	v_mov_b32_e32 v6, v67                                      // 0000000128DC: 7E0C0343
	s_mov_b64 s[60:61], 0                                      // 0000000128E0: BEBC0180
	v_readlane_b32 s82, v3, 18                                 // 0000000128E4: D2890052 00012503
	s_and_b32 s82, s82, 0xffffff                               // 0000000128EC: 8652FF52 00FFFFFF
	s_cmp_lt_u32 s82, s66                                      // 0000000128F4: BF0A4252
	s_cselect_b32 s20, s36, s60                                // 0000000128F8: 85143C24
	v_readlane_b32 s82, v3, 19                                 // 0000000128FC: D2890052 00012703
	s_and_b32 s82, s82, 0xffffff                               // 000000012904: 8652FF52 00FFFFFF
	s_cmp_lt_u32 s82, s66                                      // 00000001290C: BF0A4252
	s_cselect_b32 s21, s36, s60                                // 000000012910: 85153C24
	s_mov_b64 exec, s[20:21]                                   // 000000012914: BEFE0114
	global_atomic_add_f32 v6, v165, s[8:9]                     // 000000012918: DD348000 0008A506
	global_atomic_add_f32 v6, v169, s[8:9] offset:256          // 000000012920: DD348100 0008A906
	s_mov_b64 exec, s[36:37]                                   // 000000012928: BEFE0124
	v_mov_b32_e32 v6, v68                                      // 00000001292C: 7E0C0344
	s_mov_b64 s[60:61], 0                                      // 000000012930: BEBC0180
	v_readlane_b32 s82, v3, 20                                 // 000000012934: D2890052 00012903
	s_and_b32 s82, s82, 0xffffff                               // 00000001293C: 8652FF52 00FFFFFF
	s_cmp_lt_u32 s82, s66                                      // 000000012944: BF0A4252
	s_cselect_b32 s20, s36, s60                                // 000000012948: 85143C24
	v_readlane_b32 s82, v3, 21                                 // 00000001294C: D2890052 00012B03
	s_and_b32 s82, s82, 0xffffff                               // 000000012954: 8652FF52 00FFFFFF
	s_cmp_lt_u32 s82, s66                                      // 00000001295C: BF0A4252
	s_cselect_b32 s21, s36, s60                                // 000000012960: 85153C24
	s_mov_b64 exec, s[20:21]                                   // 000000012964: BEFE0114
	global_atomic_add_f32 v6, v172, s[8:9]                     // 000000012968: DD348000 0008AC06
	global_atomic_add_f32 v6, v176, s[8:9] offset:256          // 000000012970: DD348100 0008B006
	s_mov_b64 exec, s[36:37]                                   // 000000012978: BEFE0124
	v_mov_b32_e32 v6, v69                                      // 00000001297C: 7E0C0345
	s_mov_b64 s[60:61], 0                                      // 000000012980: BEBC0180
	v_readlane_b32 s82, v3, 22                                 // 000000012984: D2890052 00012D03
	s_and_b32 s82, s82, 0xffffff                               // 00000001298C: 8652FF52 00FFFFFF
	s_cmp_lt_u32 s82, s66                                      // 000000012994: BF0A4252
	s_cselect_b32 s20, s36, s60                                // 000000012998: 85143C24
	v_readlane_b32 s82, v3, 23                                 // 00000001299C: D2890052 00012F03
	s_and_b32 s82, s82, 0xffffff                               // 0000000129A4: 8652FF52 00FFFFFF
	s_cmp_lt_u32 s82, s66                                      // 0000000129AC: BF0A4252
	s_cselect_b32 s21, s36, s60                                // 0000000129B0: 85153C24
	s_mov_b64 exec, s[20:21]                                   // 0000000129B4: BEFE0114
	global_atomic_add_f32 v6, v173, s[8:9]                     // 0000000129B8: DD348000 0008AD06
	global_atomic_add_f32 v6, v177, s[8:9] offset:256          // 0000000129C0: DD348100 0008B106
	s_mov_b64 exec, s[36:37]                                   // 0000000129C8: BEFE0124
	v_mov_b32_e32 v6, v70                                      // 0000000129CC: 7E0C0346
	s_mov_b64 s[60:61], 0                                      // 0000000129D0: BEBC0180
	v_readlane_b32 s82, v3, 24                                 // 0000000129D4: D2890052 00013103
	s_and_b32 s82, s82, 0xffffff                               // 0000000129DC: 8652FF52 00FFFFFF
	s_cmp_lt_u32 s82, s66                                      // 0000000129E4: BF0A4252
	s_cselect_b32 s20, s36, s60                                // 0000000129E8: 85143C24
	v_readlane_b32 s82, v3, 25                                 // 0000000129EC: D2890052 00013303
	s_and_b32 s82, s82, 0xffffff                               // 0000000129F4: 8652FF52 00FFFFFF
	s_cmp_lt_u32 s82, s66                                      // 0000000129FC: BF0A4252
	s_cselect_b32 s21, s36, s60                                // 000000012A00: 85153C24
	s_mov_b64 exec, s[20:21]                                   // 000000012A04: BEFE0114
	global_atomic_add_f32 v6, v180, s[8:9]                     // 000000012A08: DD348000 0008B406
	global_atomic_add_f32 v6, v184, s[8:9] offset:256          // 000000012A10: DD348100 0008B806
	s_mov_b64 exec, s[36:37]                                   // 000000012A18: BEFE0124
	v_mov_b32_e32 v6, v71                                      // 000000012A1C: 7E0C0347
	s_mov_b64 s[60:61], 0                                      // 000000012A20: BEBC0180
	v_readlane_b32 s82, v3, 26                                 // 000000012A24: D2890052 00013503
	s_and_b32 s82, s82, 0xffffff                               // 000000012A2C: 8652FF52 00FFFFFF
	s_cmp_lt_u32 s82, s66                                      // 000000012A34: BF0A4252
	s_cselect_b32 s20, s36, s60                                // 000000012A38: 85143C24
	v_readlane_b32 s82, v3, 27                                 // 000000012A3C: D2890052 00013703
	s_and_b32 s82, s82, 0xffffff                               // 000000012A44: 8652FF52 00FFFFFF
	s_cmp_lt_u32 s82, s66                                      // 000000012A4C: BF0A4252
	s_cselect_b32 s21, s36, s60                                // 000000012A50: 85153C24
	s_mov_b64 exec, s[20:21]                                   // 000000012A54: BEFE0114
	global_atomic_add_f32 v6, v181, s[8:9]                     // 000000012A58: DD348000 0008B506
	global_atomic_add_f32 v6, v185, s[8:9] offset:256          // 000000012A60: DD348100 0008B906
	s_mov_b64 exec, s[36:37]                                   // 000000012A68: BEFE0124
	ds_write_b64 v20, v[134:135]                               // 000000012A6C: D89A0000 00008614
	ds_write_b64 v20, v[138:139] offset:4352                   // 000000012A74: D89A1100 00008A14
	ds_write_b64 v20, v[142:143] offset:8704                   // 000000012A7C: D89A2200 00008E14
	ds_write_b64 v20, v[146:147] offset:13056                  // 000000012A84: D89A3300 00009214
	ds_write_b64 v20, v[150:151] offset:17408                  // 000000012A8C: D89A4400 00009614
	ds_write_b64 v20, v[154:155] offset:21760                  // 000000012A94: D89A5500 00009A14
	ds_write_b64 v20, v[158:159] offset:26112                  // 000000012A9C: D89A6600 00009E14
	ds_write_b64 v20, v[162:163] offset:2176                   // 000000012AA4: D89A0880 0000A214
	ds_write_b64 v20, v[166:167] offset:6528                   // 000000012AAC: D89A1980 0000A614
	ds_write_b64 v20, v[170:171] offset:10880                  // 000000012AB4: D89A2A80 0000AA14
	ds_write_b64 v20, v[174:175] offset:15232                  // 000000012ABC: D89A3B80 0000AE14
	ds_write_b64 v20, v[178:179] offset:19584                  // 000000012AC4: D89A4C80 0000B214
	ds_write_b64 v20, v[182:183] offset:23936                  // 000000012ACC: D89A5D80 0000B614
	ds_write_b64 v20, v[186:187] offset:28288                  // 000000012AD4: D89A6E80 0000BA14
	s_waitcnt lgkmcnt(0)                                       // 000000012ADC: BF8CC07F
	s_barrier                                                  // 000000012AE0: BF8A0000
	ds_read_b32 v134, v21                                      // 000000012AE4: D86C0000 86000015
	ds_read_b32 v135, v21 offset:64                            // 000000012AEC: D86C0040 87000015
	ds_read_b32 v138, v21 offset:2176                          // 000000012AF4: D86C0880 8A000015
	ds_read_b32 v139, v21 offset:2240                          // 000000012AFC: D86C08C0 8B000015
	ds_read_b32 v142, v21 offset:4352                          // 000000012B04: D86C1100 8E000015
	ds_read_b32 v143, v21 offset:4416                          // 000000012B0C: D86C1140 8F000015
	ds_read_b32 v146, v21 offset:6528                          // 000000012B14: D86C1980 92000015
	ds_read_b32 v147, v21 offset:6592                          // 000000012B1C: D86C19C0 93000015
	ds_read_b32 v150, v21 offset:8704                          // 000000012B24: D86C2200 96000015
	ds_read_b32 v151, v21 offset:8768                          // 000000012B2C: D86C2240 97000015
	ds_read_b32 v154, v21 offset:10880                         // 000000012B34: D86C2A80 9A000015
	ds_read_b32 v155, v21 offset:10944                         // 000000012B3C: D86C2AC0 9B000015
	ds_read_b32 v158, v21 offset:13056                         // 000000012B44: D86C3300 9E000015
	ds_read_b32 v159, v21 offset:13120                         // 000000012B4C: D86C3340 9F000015
	ds_read_b32 v162, v21 offset:15232                         // 000000012B54: D86C3B80 A2000015
	ds_read_b32 v163, v21 offset:15296                         // 000000012B5C: D86C3BC0 A3000015
	ds_read_b32 v166, v21 offset:17408                         // 000000012B64: D86C4400 A6000015
	ds_read_b32 v167, v21 offset:17472                         // 000000012B6C: D86C4440 A7000015
	ds_read_b32 v170, v21 offset:19584                         // 000000012B74: D86C4C80 AA000015
	ds_read_b32 v171, v21 offset:19648                         // 000000012B7C: D86C4CC0 AB000015
	ds_read_b32 v174, v21 offset:21760                         // 000000012B84: D86C5500 AE000015
	ds_read_b32 v175, v21 offset:21824                         // 000000012B8C: D86C5540 AF000015
	ds_read_b32 v178, v21 offset:23936                         // 000000012B94: D86C5D80 B2000015
	ds_read_b32 v179, v21 offset:24000                         // 000000012B9C: D86C5DC0 B3000015
	ds_read_b32 v182, v21 offset:26112                         // 000000012BA4: D86C6600 B6000015
	ds_read_b32 v183, v21 offset:26176                         // 000000012BAC: D86C6640 B7000015
	ds_read_b32 v186, v21 offset:28288                         // 000000012BB4: D86C6E80 BA000015
	ds_read_b32 v187, v21 offset:28352                         // 000000012BBC: D86C6EC0 BB000015
	s_waitcnt lgkmcnt(0)                                       // 000000012BC4: BF8CC07F
	v_mov_b32_e32 v7, 0                                        // 000000012BC8: 7E0E0280
	s_mov_b64 exec, s[36:37]                                   // 000000012BCC: BEFE0124
	v_mov_b32_e32 v6, v58                                      // 000000012BD0: 7E0C033A
	s_mov_b64 s[60:61], 0                                      // 000000012BD4: BEBC0180
	v_readlane_b32 s82, v3, 0                                  // 000000012BD8: D2890052 00010103
	s_and_b32 s82, s82, 0xffffff                               // 000000012BE0: 8652FF52 00FFFFFF
	s_cmp_lt_u32 s82, s66                                      // 000000012BE8: BF0A4252
	s_cselect_b32 s20, s36, s60                                // 000000012BEC: 85143C24
	v_readlane_b32 s82, v3, 1                                  // 000000012BF0: D2890052 00010303
	s_and_b32 s82, s82, 0xffffff                               // 000000012BF8: 8652FF52 00FFFFFF
	s_cmp_lt_u32 s82, s66                                      // 000000012C00: BF0A4252
	s_cselect_b32 s21, s36, s60                                // 000000012C04: 85153C24
	s_mov_b64 exec, s[20:21]                                   // 000000012C08: BEFE0114
	global_atomic_add_f32 v6, v134, s[8:9] offset:8            // 000000012C0C: DD348008 00088606
	global_atomic_add_f32 v6, v138, s[8:9] offset:264          // 000000012C14: DD348108 00088A06
	s_mov_b64 exec, s[36:37]                                   // 000000012C1C: BEFE0124
	v_mov_b32_e32 v6, v59                                      // 000000012C20: 7E0C033B
	s_mov_b64 s[60:61], 0                                      // 000000012C24: BEBC0180
	v_readlane_b32 s82, v3, 2                                  // 000000012C28: D2890052 00010503
	s_and_b32 s82, s82, 0xffffff                               // 000000012C30: 8652FF52 00FFFFFF
	s_cmp_lt_u32 s82, s66                                      // 000000012C38: BF0A4252
	s_cselect_b32 s20, s36, s60                                // 000000012C3C: 85143C24
	v_readlane_b32 s82, v3, 3                                  // 000000012C40: D2890052 00010703
	s_and_b32 s82, s82, 0xffffff                               // 000000012C48: 8652FF52 00FFFFFF
	s_cmp_lt_u32 s82, s66                                      // 000000012C50: BF0A4252
	s_cselect_b32 s21, s36, s60                                // 000000012C54: 85153C24
	s_mov_b64 exec, s[20:21]                                   // 000000012C58: BEFE0114
	global_atomic_add_f32 v6, v135, s[8:9] offset:8            // 000000012C5C: DD348008 00088706
	global_atomic_add_f32 v6, v139, s[8:9] offset:264          // 000000012C64: DD348108 00088B06
	s_mov_b64 exec, s[36:37]                                   // 000000012C6C: BEFE0124
	v_mov_b32_e32 v6, v60                                      // 000000012C70: 7E0C033C
	s_mov_b64 s[60:61], 0                                      // 000000012C74: BEBC0180
	v_readlane_b32 s82, v3, 4                                  // 000000012C78: D2890052 00010903
	s_and_b32 s82, s82, 0xffffff                               // 000000012C80: 8652FF52 00FFFFFF
	s_cmp_lt_u32 s82, s66                                      // 000000012C88: BF0A4252
	s_cselect_b32 s20, s36, s60                                // 000000012C8C: 85143C24
	v_readlane_b32 s82, v3, 5                                  // 000000012C90: D2890052 00010B03
	s_and_b32 s82, s82, 0xffffff                               // 000000012C98: 8652FF52 00FFFFFF
	s_cmp_lt_u32 s82, s66                                      // 000000012CA0: BF0A4252
	s_cselect_b32 s21, s36, s60                                // 000000012CA4: 85153C24
	s_mov_b64 exec, s[20:21]                                   // 000000012CA8: BEFE0114
	global_atomic_add_f32 v6, v142, s[8:9] offset:8            // 000000012CAC: DD348008 00088E06
	global_atomic_add_f32 v6, v146, s[8:9] offset:264          // 000000012CB4: DD348108 00089206
	s_mov_b64 exec, s[36:37]                                   // 000000012CBC: BEFE0124
	v_mov_b32_e32 v6, v61                                      // 000000012CC0: 7E0C033D
	s_mov_b64 s[60:61], 0                                      // 000000012CC4: BEBC0180
	v_readlane_b32 s82, v3, 6                                  // 000000012CC8: D2890052 00010D03
	s_and_b32 s82, s82, 0xffffff                               // 000000012CD0: 8652FF52 00FFFFFF
	s_cmp_lt_u32 s82, s66                                      // 000000012CD8: BF0A4252
	s_cselect_b32 s20, s36, s60                                // 000000012CDC: 85143C24
	v_readlane_b32 s82, v3, 7                                  // 000000012CE0: D2890052 00010F03
	s_and_b32 s82, s82, 0xffffff                               // 000000012CE8: 8652FF52 00FFFFFF
	s_cmp_lt_u32 s82, s66                                      // 000000012CF0: BF0A4252
	s_cselect_b32 s21, s36, s60                                // 000000012CF4: 85153C24
	s_mov_b64 exec, s[20:21]                                   // 000000012CF8: BEFE0114
	global_atomic_add_f32 v6, v143, s[8:9] offset:8            // 000000012CFC: DD348008 00088F06
	global_atomic_add_f32 v6, v147, s[8:9] offset:264          // 000000012D04: DD348108 00089306
	s_mov_b64 exec, s[36:37]                                   // 000000012D0C: BEFE0124
	v_mov_b32_e32 v6, v62                                      // 000000012D10: 7E0C033E
	s_mov_b64 s[60:61], 0                                      // 000000012D14: BEBC0180
	v_readlane_b32 s82, v3, 8                                  // 000000012D18: D2890052 00011103
	s_and_b32 s82, s82, 0xffffff                               // 000000012D20: 8652FF52 00FFFFFF
	s_cmp_lt_u32 s82, s66                                      // 000000012D28: BF0A4252
	s_cselect_b32 s20, s36, s60                                // 000000012D2C: 85143C24
	v_readlane_b32 s82, v3, 9                                  // 000000012D30: D2890052 00011303
	s_and_b32 s82, s82, 0xffffff                               // 000000012D38: 8652FF52 00FFFFFF
	s_cmp_lt_u32 s82, s66                                      // 000000012D40: BF0A4252
	s_cselect_b32 s21, s36, s60                                // 000000012D44: 85153C24
	s_mov_b64 exec, s[20:21]                                   // 000000012D48: BEFE0114
	global_atomic_add_f32 v6, v150, s[8:9] offset:8            // 000000012D4C: DD348008 00089606
	global_atomic_add_f32 v6, v154, s[8:9] offset:264          // 000000012D54: DD348108 00089A06
	s_mov_b64 exec, s[36:37]                                   // 000000012D5C: BEFE0124
	v_mov_b32_e32 v6, v63                                      // 000000012D60: 7E0C033F
	s_mov_b64 s[60:61], 0                                      // 000000012D64: BEBC0180
	v_readlane_b32 s82, v3, 10                                 // 000000012D68: D2890052 00011503
	s_and_b32 s82, s82, 0xffffff                               // 000000012D70: 8652FF52 00FFFFFF
	s_cmp_lt_u32 s82, s66                                      // 000000012D78: BF0A4252
	s_cselect_b32 s20, s36, s60                                // 000000012D7C: 85143C24
	v_readlane_b32 s82, v3, 11                                 // 000000012D80: D2890052 00011703
	s_and_b32 s82, s82, 0xffffff                               // 000000012D88: 8652FF52 00FFFFFF
	s_cmp_lt_u32 s82, s66                                      // 000000012D90: BF0A4252
	s_cselect_b32 s21, s36, s60                                // 000000012D94: 85153C24
	s_mov_b64 exec, s[20:21]                                   // 000000012D98: BEFE0114
	global_atomic_add_f32 v6, v151, s[8:9] offset:8            // 000000012D9C: DD348008 00089706
	global_atomic_add_f32 v6, v155, s[8:9] offset:264          // 000000012DA4: DD348108 00089B06
	s_mov_b64 exec, s[36:37]                                   // 000000012DAC: BEFE0124
	v_mov_b32_e32 v6, v64                                      // 000000012DB0: 7E0C0340
	s_mov_b64 s[60:61], 0                                      // 000000012DB4: BEBC0180
	v_readlane_b32 s82, v3, 12                                 // 000000012DB8: D2890052 00011903
	s_and_b32 s82, s82, 0xffffff                               // 000000012DC0: 8652FF52 00FFFFFF
	s_cmp_lt_u32 s82, s66                                      // 000000012DC8: BF0A4252
	s_cselect_b32 s20, s36, s60                                // 000000012DCC: 85143C24
	v_readlane_b32 s82, v3, 13                                 // 000000012DD0: D2890052 00011B03
	s_and_b32 s82, s82, 0xffffff                               // 000000012DD8: 8652FF52 00FFFFFF
	s_cmp_lt_u32 s82, s66                                      // 000000012DE0: BF0A4252
	s_cselect_b32 s21, s36, s60                                // 000000012DE4: 85153C24
	s_mov_b64 exec, s[20:21]                                   // 000000012DE8: BEFE0114
	global_atomic_add_f32 v6, v158, s[8:9] offset:8            // 000000012DEC: DD348008 00089E06
	global_atomic_add_f32 v6, v162, s[8:9] offset:264          // 000000012DF4: DD348108 0008A206
	s_mov_b64 exec, s[36:37]                                   // 000000012DFC: BEFE0124
	v_mov_b32_e32 v6, v65                                      // 000000012E00: 7E0C0341
	s_mov_b64 s[60:61], 0                                      // 000000012E04: BEBC0180
	v_readlane_b32 s82, v3, 14                                 // 000000012E08: D2890052 00011D03
	s_and_b32 s82, s82, 0xffffff                               // 000000012E10: 8652FF52 00FFFFFF
	s_cmp_lt_u32 s82, s66                                      // 000000012E18: BF0A4252
	s_cselect_b32 s20, s36, s60                                // 000000012E1C: 85143C24
	v_readlane_b32 s82, v3, 15                                 // 000000012E20: D2890052 00011F03
	s_and_b32 s82, s82, 0xffffff                               // 000000012E28: 8652FF52 00FFFFFF
	s_cmp_lt_u32 s82, s66                                      // 000000012E30: BF0A4252
	s_cselect_b32 s21, s36, s60                                // 000000012E34: 85153C24
	s_mov_b64 exec, s[20:21]                                   // 000000012E38: BEFE0114
	global_atomic_add_f32 v6, v159, s[8:9] offset:8            // 000000012E3C: DD348008 00089F06
	global_atomic_add_f32 v6, v163, s[8:9] offset:264          // 000000012E44: DD348108 0008A306
	s_mov_b64 exec, s[36:37]                                   // 000000012E4C: BEFE0124
	v_mov_b32_e32 v6, v66                                      // 000000012E50: 7E0C0342
	s_mov_b64 s[60:61], 0                                      // 000000012E54: BEBC0180
	v_readlane_b32 s82, v3, 16                                 // 000000012E58: D2890052 00012103
	s_and_b32 s82, s82, 0xffffff                               // 000000012E60: 8652FF52 00FFFFFF
	s_cmp_lt_u32 s82, s66                                      // 000000012E68: BF0A4252
	s_cselect_b32 s20, s36, s60                                // 000000012E6C: 85143C24
	v_readlane_b32 s82, v3, 17                                 // 000000012E70: D2890052 00012303
	s_and_b32 s82, s82, 0xffffff                               // 000000012E78: 8652FF52 00FFFFFF
	s_cmp_lt_u32 s82, s66                                      // 000000012E80: BF0A4252
	s_cselect_b32 s21, s36, s60                                // 000000012E84: 85153C24
	s_mov_b64 exec, s[20:21]                                   // 000000012E88: BEFE0114
	global_atomic_add_f32 v6, v166, s[8:9] offset:8            // 000000012E8C: DD348008 0008A606
	global_atomic_add_f32 v6, v170, s[8:9] offset:264          // 000000012E94: DD348108 0008AA06
	s_mov_b64 exec, s[36:37]                                   // 000000012E9C: BEFE0124
	v_mov_b32_e32 v6, v67                                      // 000000012EA0: 7E0C0343
	s_mov_b64 s[60:61], 0                                      // 000000012EA4: BEBC0180
	v_readlane_b32 s82, v3, 18                                 // 000000012EA8: D2890052 00012503
	s_and_b32 s82, s82, 0xffffff                               // 000000012EB0: 8652FF52 00FFFFFF
	s_cmp_lt_u32 s82, s66                                      // 000000012EB8: BF0A4252
	s_cselect_b32 s20, s36, s60                                // 000000012EBC: 85143C24
	v_readlane_b32 s82, v3, 19                                 // 000000012EC0: D2890052 00012703
	s_and_b32 s82, s82, 0xffffff                               // 000000012EC8: 8652FF52 00FFFFFF
	s_cmp_lt_u32 s82, s66                                      // 000000012ED0: BF0A4252
	s_cselect_b32 s21, s36, s60                                // 000000012ED4: 85153C24
	s_mov_b64 exec, s[20:21]                                   // 000000012ED8: BEFE0114
	global_atomic_add_f32 v6, v167, s[8:9] offset:8            // 000000012EDC: DD348008 0008A706
	global_atomic_add_f32 v6, v171, s[8:9] offset:264          // 000000012EE4: DD348108 0008AB06
	s_mov_b64 exec, s[36:37]                                   // 000000012EEC: BEFE0124
	v_mov_b32_e32 v6, v68                                      // 000000012EF0: 7E0C0344
	s_mov_b64 s[60:61], 0                                      // 000000012EF4: BEBC0180
	v_readlane_b32 s82, v3, 20                                 // 000000012EF8: D2890052 00012903
	s_and_b32 s82, s82, 0xffffff                               // 000000012F00: 8652FF52 00FFFFFF
	s_cmp_lt_u32 s82, s66                                      // 000000012F08: BF0A4252
	s_cselect_b32 s20, s36, s60                                // 000000012F0C: 85143C24
	v_readlane_b32 s82, v3, 21                                 // 000000012F10: D2890052 00012B03
	s_and_b32 s82, s82, 0xffffff                               // 000000012F18: 8652FF52 00FFFFFF
	s_cmp_lt_u32 s82, s66                                      // 000000012F20: BF0A4252
	s_cselect_b32 s21, s36, s60                                // 000000012F24: 85153C24
	s_mov_b64 exec, s[20:21]                                   // 000000012F28: BEFE0114
	global_atomic_add_f32 v6, v174, s[8:9] offset:8            // 000000012F2C: DD348008 0008AE06
	global_atomic_add_f32 v6, v178, s[8:9] offset:264          // 000000012F34: DD348108 0008B206
	s_mov_b64 exec, s[36:37]                                   // 000000012F3C: BEFE0124
	v_mov_b32_e32 v6, v69                                      // 000000012F40: 7E0C0345
	s_mov_b64 s[60:61], 0                                      // 000000012F44: BEBC0180
	v_readlane_b32 s82, v3, 22                                 // 000000012F48: D2890052 00012D03
	s_and_b32 s82, s82, 0xffffff                               // 000000012F50: 8652FF52 00FFFFFF
	s_cmp_lt_u32 s82, s66                                      // 000000012F58: BF0A4252
	s_cselect_b32 s20, s36, s60                                // 000000012F5C: 85143C24
	v_readlane_b32 s82, v3, 23                                 // 000000012F60: D2890052 00012F03
	s_and_b32 s82, s82, 0xffffff                               // 000000012F68: 8652FF52 00FFFFFF
	s_cmp_lt_u32 s82, s66                                      // 000000012F70: BF0A4252
	s_cselect_b32 s21, s36, s60                                // 000000012F74: 85153C24
	s_mov_b64 exec, s[20:21]                                   // 000000012F78: BEFE0114
	global_atomic_add_f32 v6, v175, s[8:9] offset:8            // 000000012F7C: DD348008 0008AF06
	global_atomic_add_f32 v6, v179, s[8:9] offset:264          // 000000012F84: DD348108 0008B306
	s_mov_b64 exec, s[36:37]                                   // 000000012F8C: BEFE0124
	v_mov_b32_e32 v6, v70                                      // 000000012F90: 7E0C0346
	s_mov_b64 s[60:61], 0                                      // 000000012F94: BEBC0180
	v_readlane_b32 s82, v3, 24                                 // 000000012F98: D2890052 00013103
	s_and_b32 s82, s82, 0xffffff                               // 000000012FA0: 8652FF52 00FFFFFF
	s_cmp_lt_u32 s82, s66                                      // 000000012FA8: BF0A4252
	s_cselect_b32 s20, s36, s60                                // 000000012FAC: 85143C24
	v_readlane_b32 s82, v3, 25                                 // 000000012FB0: D2890052 00013303
	s_and_b32 s82, s82, 0xffffff                               // 000000012FB8: 8652FF52 00FFFFFF
	s_cmp_lt_u32 s82, s66                                      // 000000012FC0: BF0A4252
	s_cselect_b32 s21, s36, s60                                // 000000012FC4: 85153C24
	s_mov_b64 exec, s[20:21]                                   // 000000012FC8: BEFE0114
	global_atomic_add_f32 v6, v182, s[8:9] offset:8            // 000000012FCC: DD348008 0008B606
	global_atomic_add_f32 v6, v186, s[8:9] offset:264          // 000000012FD4: DD348108 0008BA06
	s_mov_b64 exec, s[36:37]                                   // 000000012FDC: BEFE0124
	v_mov_b32_e32 v6, v71                                      // 000000012FE0: 7E0C0347
	s_mov_b64 s[60:61], 0                                      // 000000012FE4: BEBC0180
	v_readlane_b32 s82, v3, 26                                 // 000000012FE8: D2890052 00013503
	s_and_b32 s82, s82, 0xffffff                               // 000000012FF0: 8652FF52 00FFFFFF
	s_cmp_lt_u32 s82, s66                                      // 000000012FF8: BF0A4252
	s_cselect_b32 s20, s36, s60                                // 000000012FFC: 85143C24
	v_readlane_b32 s82, v3, 27                                 // 000000013000: D2890052 00013703
	s_and_b32 s82, s82, 0xffffff                               // 000000013008: 8652FF52 00FFFFFF
	s_cmp_lt_u32 s82, s66                                      // 000000013010: BF0A4252
	s_cselect_b32 s21, s36, s60                                // 000000013014: 85153C24
	s_mov_b64 exec, s[20:21]                                   // 000000013018: BEFE0114
	global_atomic_add_f32 v6, v183, s[8:9] offset:8            // 00000001301C: DD348008 0008B706
	global_atomic_add_f32 v6, v187, s[8:9] offset:264          // 000000013024: DD348108 0008BB06
	s_mov_b64 exec, s[36:37]                                   // 00000001302C: BEFE0124
	s_branch label_4190                                        // 000000013030: BF820000

0000000000013034 <label_4190>:
	s_waitcnt vmcnt(0) expcnt(0) lgkmcnt(0)                    // 000000013034: BF8C0000
	s_endpgm                                                   // 000000013038: BF810000
